;; amdgpu-corpus repo=ROCm/rocFFT kind=compiled arch=gfx1100 opt=O3
	.text
	.amdgcn_target "amdgcn-amd-amdhsa--gfx1100"
	.amdhsa_code_object_version 6
	.protected	bluestein_single_back_len704_dim1_dp_op_CI_CI ; -- Begin function bluestein_single_back_len704_dim1_dp_op_CI_CI
	.globl	bluestein_single_back_len704_dim1_dp_op_CI_CI
	.p2align	8
	.type	bluestein_single_back_len704_dim1_dp_op_CI_CI,@function
bluestein_single_back_len704_dim1_dp_op_CI_CI: ; @bluestein_single_back_len704_dim1_dp_op_CI_CI
; %bb.0:
	s_load_b128 s[16:19], s[0:1], 0x28
	v_mul_u32_u24_e32 v1, 0x2e9, v0
	v_mov_b32_e32 v11, 0
	s_mov_b32 s2, exec_lo
	s_delay_alu instid0(VALU_DEP_2) | instskip(NEXT) | instid1(VALU_DEP_1)
	v_lshrrev_b32_e32 v32, 16, v1
	v_lshl_add_u32 v10, s15, 1, v32
	s_waitcnt lgkmcnt(0)
	s_delay_alu instid0(VALU_DEP_1)
	v_cmpx_gt_u64_e64 s[16:17], v[10:11]
	s_cbranch_execz .LBB0_10
; %bb.1:
	s_clause 0x1
	s_load_b128 s[4:7], s[0:1], 0x18
	s_load_b128 s[8:11], s[0:1], 0x0
	v_mul_lo_u16 v1, 0x58, v32
	s_delay_alu instid0(VALU_DEP_1) | instskip(NEXT) | instid1(VALU_DEP_1)
	v_sub_nc_u16 v36, v0, v1
	v_and_b32_e32 v140, 0xffff, v36
	s_waitcnt lgkmcnt(0)
	s_load_b128 s[12:15], s[4:5], 0x0
	s_waitcnt lgkmcnt(0)
	v_mad_u64_u32 v[16:17], null, s14, v10, 0
	v_mad_u64_u32 v[18:19], null, s12, v140, 0
	s_mul_hi_u32 s3, s12, 0x1600
	s_mul_i32 s4, s12, 0x1600
	s_mul_i32 s5, s13, 0xffffef80
	s_delay_alu instid0(VALU_DEP_1)
	v_dual_mov_b32 v12, v17 :: v_dual_mov_b32 v13, v19
	v_lshlrev_b32_e32 v243, 4, v140
	s_clause 0x2
	global_load_b128 v[249:252], v243, s[8:9]
	global_load_b128 v[2:5], v243, s[8:9] offset:1408
	global_load_b128 v[6:9], v243, s[8:9] offset:2816
	v_mad_u64_u32 v[19:20], null, s15, v10, v[12:13]
	v_mad_u64_u32 v[20:21], null, s13, v140, v[13:14]
	v_add_co_u32 v247, s2, s8, v243
	v_mov_b32_e32 v0, v10
	v_add_co_ci_u32_e64 v248, null, s9, 0, s2
	v_mov_b32_e32 v17, v19
	s_delay_alu instid0(VALU_DEP_4) | instskip(SKIP_1) | instid1(VALU_DEP_4)
	v_add_co_u32 v24, vcc_lo, 0x1000, v247
	v_mov_b32_e32 v19, v20
	v_add_co_ci_u32_e32 v25, vcc_lo, 0, v248, vcc_lo
	s_delay_alu instid0(VALU_DEP_4)
	v_lshlrev_b64 v[16:17], 4, v[16:17]
	v_add_co_u32 v120, vcc_lo, 0x2000, v247
	v_add_co_ci_u32_e32 v121, vcc_lo, 0, v248, vcc_lo
	v_lshlrev_b64 v[18:19], 4, v[18:19]
	scratch_store_b64 off, v[0:1], off offset:64 ; 8-byte Folded Spill
	v_add_co_u32 v0, vcc_lo, s18, v16
	v_add_co_ci_u32_e32 v1, vcc_lo, s19, v17, vcc_lo
	s_mul_i32 s2, s13, 0x1600
	s_delay_alu instid0(VALU_DEP_2) | instskip(SKIP_1) | instid1(VALU_DEP_3)
	v_add_co_u32 v26, vcc_lo, v0, v18
	v_and_b32_e32 v0, 1, v32
	v_add_co_ci_u32_e32 v27, vcc_lo, v1, v19, vcc_lo
	s_add_i32 s3, s3, s2
	s_delay_alu instid0(VALU_DEP_3) | instskip(SKIP_1) | instid1(VALU_DEP_2)
	v_add_co_u32 v28, vcc_lo, v26, s4
	s_mul_hi_u32 s8, s12, 0xffffef80
	v_add_co_ci_u32_e32 v29, vcc_lo, s3, v27, vcc_lo
	s_mul_i32 s9, s12, 0xffffef80
	s_sub_i32 s2, s8, s12
	v_add_co_u32 v30, vcc_lo, v28, s9
	s_add_i32 s2, s2, s5
	s_clause 0x1
	global_load_b128 v[10:13], v[24:25], off offset:1536
	global_load_b128 v[14:17], v[24:25], off offset:2944
	v_add_co_ci_u32_e32 v31, vcc_lo, s2, v29, vcc_lo
	v_add_co_u32 v33, vcc_lo, v30, s4
	global_load_b128 v[18:21], v[120:121], off offset:256
	v_add_co_ci_u32_e32 v34, vcc_lo, s3, v31, vcc_lo
	v_add_co_u32 v53, vcc_lo, v33, s9
	s_clause 0x1
	global_load_b128 v[37:40], v[26:27], off
	global_load_b128 v[41:44], v[28:29], off
	v_add_co_ci_u32_e32 v54, vcc_lo, s2, v34, vcc_lo
	v_add_co_u32 v26, vcc_lo, v53, s4
	s_clause 0x1
	global_load_b128 v[45:48], v[30:31], off
	global_load_b128 v[49:52], v[33:34], off
	v_add_co_ci_u32_e32 v27, vcc_lo, s3, v54, vcc_lo
	v_add_co_u32 v28, vcc_lo, v26, s9
	global_load_b128 v[53:56], v[53:54], off
	v_add_co_ci_u32_e32 v29, vcc_lo, s2, v27, vcc_lo
	v_add_co_u32 v33, vcc_lo, v28, s4
	s_delay_alu instid0(VALU_DEP_2)
	v_add_co_ci_u32_e32 v34, vcc_lo, s3, v29, vcc_lo
	global_load_b128 v[57:60], v[26:27], off
	global_load_b128 v[22:25], v[24:25], off offset:128
	global_load_b128 v[61:64], v[28:29], off
	global_load_b128 v[26:29], v[120:121], off offset:1664
	global_load_b128 v[65:68], v[33:34], off
	v_cmp_eq_u32_e32 vcc_lo, 1, v0
	s_load_b128 s[4:7], s[6:7], 0x0
	v_and_b32_e32 v0, 1, v140
	s_load_b64 s[2:3], s[0:1], 0x38
	s_delay_alu instid0(VALU_DEP_1)
	v_lshlrev_b32_e32 v1, 4, v0
	s_waitcnt vmcnt(14)
	scratch_store_b128 off, v[2:5], off     ; 16-byte Folded Spill
	s_waitcnt vmcnt(13)
	scratch_store_b128 off, v[6:9], off offset:16 ; 16-byte Folded Spill
	s_waitcnt vmcnt(12)
	scratch_store_b128 off, v[10:13], off offset:32 ; 16-byte Folded Spill
	;; [unrolled: 2-line block ×4, first 2 shown]
	s_waitcnt vmcnt(9)
	v_mul_f64 v[33:34], v[39:40], v[251:252]
	v_mul_f64 v[69:70], v[37:38], v[251:252]
	s_waitcnt vmcnt(8)
	v_mul_f64 v[71:72], v[43:44], v[12:13]
	v_mul_f64 v[73:74], v[41:42], v[12:13]
	;; [unrolled: 3-line block ×5, first 2 shown]
	s_waitcnt vmcnt(4)
	v_mul_f64 v[87:88], v[59:60], v[20:21]
	s_waitcnt vmcnt(3)
	scratch_store_b128 off, v[22:25], off offset:88 ; 16-byte Folded Spill
	s_waitcnt vmcnt(2)
	v_mul_f64 v[91:92], v[63:64], v[24:25]
	v_mul_f64 v[93:94], v[61:62], v[24:25]
	;; [unrolled: 1-line block ×3, first 2 shown]
	s_waitcnt vmcnt(0)
	v_mul_f64 v[95:96], v[67:68], v[28:29]
	v_mul_f64 v[97:98], v[65:66], v[28:29]
	scratch_store_b128 off, v[26:29], off offset:104 ; 16-byte Folded Spill
	v_fma_f64 v[37:38], v[37:38], v[249:250], v[33:34]
	v_fma_f64 v[39:40], v[39:40], v[249:250], -v[69:70]
	v_fma_f64 v[41:42], v[41:42], v[10:11], v[71:72]
	v_fma_f64 v[43:44], v[43:44], v[10:11], -v[73:74]
	;; [unrolled: 2-line block ×5, first 2 shown]
	v_cndmask_b32_e64 v6, 0, 0x2c0, vcc_lo
	v_cmp_gt_u16_e32 vcc_lo, 64, v36
	v_fma_f64 v[57:58], v[57:58], v[18:19], v[87:88]
	v_fma_f64 v[61:62], v[61:62], v[22:23], v[91:92]
	v_fma_f64 v[63:64], v[63:64], v[22:23], -v[93:94]
	v_fma_f64 v[59:60], v[59:60], v[18:19], -v[89:90]
	v_fma_f64 v[65:66], v[65:66], v[26:27], v[95:96]
	v_fma_f64 v[67:68], v[67:68], v[26:27], -v[97:98]
	v_lshlrev_b32_e32 v245, 4, v6
                                        ; implicit-def: $vgpr96_vgpr97
	s_delay_alu instid0(VALU_DEP_1)
	v_add_nc_u32_e32 v244, v245, v243
	v_lshl_add_u32 v22, v140, 5, v245
	ds_store_b128 v244, v[37:40]
	ds_store_b128 v244, v[45:48] offset:1408
	ds_store_b128 v244, v[41:44] offset:5632
	;; [unrolled: 1-line block ×7, first 2 shown]
	s_waitcnt lgkmcnt(0)
	s_waitcnt_vscnt null, 0x0
	s_barrier
	buffer_gl0_inv
	ds_load_b128 v[32:35], v244 offset:5632
	ds_load_b128 v[37:40], v244
	ds_load_b128 v[41:44], v244 offset:1408
	ds_load_b128 v[45:48], v244 offset:7040
	;; [unrolled: 1-line block ×6, first 2 shown]
	s_waitcnt lgkmcnt(0)
	s_barrier
	buffer_gl0_inv
	v_add_f64 v[32:33], v[37:38], -v[32:33]
	v_add_f64 v[34:35], v[39:40], -v[34:35]
	;; [unrolled: 1-line block ×8, first 2 shown]
	v_fma_f64 v[69:70], v[37:38], 2.0, -v[32:33]
	v_fma_f64 v[71:72], v[39:40], 2.0, -v[34:35]
	;; [unrolled: 1-line block ×8, first 2 shown]
	v_lshlrev_b32_e32 v37, 1, v140
	s_delay_alu instid0(VALU_DEP_1) | instskip(SKIP_3) | instid1(VALU_DEP_4)
	v_add_nc_u32_e32 v52, 0xb0, v37
	v_add_nc_u32_e32 v39, 0x160, v37
	;; [unrolled: 1-line block ×3, first 2 shown]
	v_and_or_b32 v2, 0xfc, v37, v0
	v_lshl_add_u32 v21, v52, 4, v245
	s_delay_alu instid0(VALU_DEP_4) | instskip(NEXT) | instid1(VALU_DEP_4)
	v_lshl_add_u32 v20, v39, 4, v245
	v_lshl_add_u32 v18, v38, 4, v245
	ds_store_b128 v22, v[69:72]
	ds_store_b128 v22, v[32:35] offset:16
	ds_store_b128 v21, v[40:43]
	ds_store_b128 v21, v[45:48] offset:16
	;; [unrolled: 2-line block ×4, first 2 shown]
	s_waitcnt lgkmcnt(0)
	s_barrier
	buffer_gl0_inv
	global_load_b128 v[32:35], v1, s[10:11]
	ds_load_b128 v[40:43], v244 offset:5632
	ds_load_b128 v[44:47], v244 offset:7040
	;; [unrolled: 1-line block ×4, first 2 shown]
	v_and_b32_e32 v1, 3, v140
	v_and_or_b32 v3, 0x1fc, v52, v0
	v_and_or_b32 v4, 0x3fc, v39, v0
	;; [unrolled: 1-line block ×3, first 2 shown]
	v_lshl_add_u32 v28, v2, 4, v245
	v_lshlrev_b32_e32 v5, 4, v1
	v_lshl_add_u32 v26, v3, 4, v245
	v_lshl_add_u32 v24, v4, 4, v245
	;; [unrolled: 1-line block ×3, first 2 shown]
	v_and_b32_e32 v0, 7, v140
	v_and_or_b32 v2, 0xf8, v37, v1
	v_and_or_b32 v3, 0x1f8, v52, v1
	;; [unrolled: 1-line block ×4, first 2 shown]
	s_delay_alu instid0(VALU_DEP_4) | instskip(NEXT) | instid1(VALU_DEP_4)
	v_lshl_add_u32 v255, v2, 4, v245
	v_lshl_add_u32 v246, v3, 4, v245
	s_delay_alu instid0(VALU_DEP_4) | instskip(NEXT) | instid1(VALU_DEP_4)
	v_lshl_add_u32 v31, v4, 4, v245
	v_lshl_add_u32 v27, v1, 4, v245
	v_and_or_b32 v1, 0xf0, v37, v0
	v_and_or_b32 v2, 0x1f0, v52, v0
	;; [unrolled: 1-line block ×3, first 2 shown]
	s_delay_alu instid0(VALU_DEP_3) | instskip(NEXT) | instid1(VALU_DEP_3)
	v_lshl_add_u32 v30, v1, 4, v245
	v_lshl_add_u32 v29, v2, 4, v245
	s_delay_alu instid0(VALU_DEP_3)
	v_lshl_add_u32 v23, v3, 4, v245
	s_waitcnt vmcnt(0) lgkmcnt(3)
	v_mul_f64 v[57:58], v[42:43], v[34:35]
	v_mul_f64 v[59:60], v[40:41], v[34:35]
	s_waitcnt lgkmcnt(2)
	v_mul_f64 v[61:62], v[46:47], v[34:35]
	v_mul_f64 v[63:64], v[44:45], v[34:35]
	s_waitcnt lgkmcnt(1)
	;; [unrolled: 3-line block ×3, first 2 shown]
	v_mul_f64 v[69:70], v[55:56], v[34:35]
	v_mul_f64 v[71:72], v[53:54], v[34:35]
	v_fma_f64 v[57:58], v[40:41], v[32:33], -v[57:58]
	v_fma_f64 v[59:60], v[42:43], v[32:33], v[59:60]
	v_fma_f64 v[61:62], v[44:45], v[32:33], -v[61:62]
	v_fma_f64 v[63:64], v[46:47], v[32:33], v[63:64]
	;; [unrolled: 2-line block ×4, first 2 shown]
	ds_load_b128 v[40:43], v244
	ds_load_b128 v[44:47], v244 offset:1408
	ds_load_b128 v[48:51], v244 offset:2816
	;; [unrolled: 1-line block ×3, first 2 shown]
	s_waitcnt lgkmcnt(0)
	s_barrier
	buffer_gl0_inv
	v_add_f64 v[57:58], v[40:41], -v[57:58]
	v_add_f64 v[59:60], v[42:43], -v[59:60]
	;; [unrolled: 1-line block ×8, first 2 shown]
	v_fma_f64 v[40:41], v[40:41], 2.0, -v[57:58]
	v_fma_f64 v[42:43], v[42:43], 2.0, -v[59:60]
	;; [unrolled: 1-line block ×8, first 2 shown]
	ds_store_b128 v28, v[40:43]
	ds_store_b128 v28, v[57:60] offset:32
	ds_store_b128 v26, v[44:47]
	ds_store_b128 v26, v[61:64] offset:32
	;; [unrolled: 2-line block ×4, first 2 shown]
	s_waitcnt lgkmcnt(0)
	s_barrier
	buffer_gl0_inv
	global_load_b128 v[40:43], v5, s[10:11] offset:32
	ds_load_b128 v[44:47], v244 offset:5632
	ds_load_b128 v[48:51], v244 offset:7040
	;; [unrolled: 1-line block ×4, first 2 shown]
	v_lshlrev_b32_e32 v5, 4, v0
	v_and_or_b32 v0, 0x3f0, v38, v0
	s_delay_alu instid0(VALU_DEP_1)
	v_lshl_add_u32 v25, v0, 4, v245
	s_waitcnt vmcnt(0) lgkmcnt(3)
	v_mul_f64 v[61:62], v[46:47], v[42:43]
	v_mul_f64 v[63:64], v[44:45], v[42:43]
	s_waitcnt lgkmcnt(2)
	v_mul_f64 v[65:66], v[50:51], v[42:43]
	v_mul_f64 v[67:68], v[48:49], v[42:43]
	s_waitcnt lgkmcnt(1)
	;; [unrolled: 3-line block ×3, first 2 shown]
	v_mul_f64 v[73:74], v[59:60], v[42:43]
	v_mul_f64 v[75:76], v[57:58], v[42:43]
	v_fma_f64 v[61:62], v[44:45], v[40:41], -v[61:62]
	v_fma_f64 v[63:64], v[46:47], v[40:41], v[63:64]
	v_fma_f64 v[65:66], v[48:49], v[40:41], -v[65:66]
	v_fma_f64 v[67:68], v[50:51], v[40:41], v[67:68]
	;; [unrolled: 2-line block ×4, first 2 shown]
	ds_load_b128 v[44:47], v244
	ds_load_b128 v[48:51], v244 offset:1408
	ds_load_b128 v[53:56], v244 offset:2816
	;; [unrolled: 1-line block ×3, first 2 shown]
	s_waitcnt lgkmcnt(0)
	s_barrier
	buffer_gl0_inv
	v_add_f64 v[61:62], v[44:45], -v[61:62]
	v_add_f64 v[63:64], v[46:47], -v[63:64]
	;; [unrolled: 1-line block ×8, first 2 shown]
	v_fma_f64 v[44:45], v[44:45], 2.0, -v[61:62]
	v_fma_f64 v[46:47], v[46:47], 2.0, -v[63:64]
	;; [unrolled: 1-line block ×8, first 2 shown]
	ds_store_b128 v255, v[44:47]
	ds_store_b128 v255, v[61:64] offset:64
	ds_store_b128 v246, v[48:51]
	ds_store_b128 v246, v[65:68] offset:64
	;; [unrolled: 2-line block ×4, first 2 shown]
	s_waitcnt lgkmcnt(0)
	s_barrier
	buffer_gl0_inv
	global_load_b128 v[44:47], v5, s[10:11] offset:96
	ds_load_b128 v[48:51], v244 offset:5632
	ds_load_b128 v[53:56], v244 offset:7040
	;; [unrolled: 1-line block ×4, first 2 shown]
	s_waitcnt vmcnt(0) lgkmcnt(3)
	v_mul_f64 v[65:66], v[50:51], v[46:47]
	v_mul_f64 v[67:68], v[48:49], v[46:47]
	s_waitcnt lgkmcnt(2)
	v_mul_f64 v[69:70], v[55:56], v[46:47]
	v_mul_f64 v[71:72], v[53:54], v[46:47]
	s_waitcnt lgkmcnt(1)
	;; [unrolled: 3-line block ×3, first 2 shown]
	v_mul_f64 v[77:78], v[63:64], v[46:47]
	v_mul_f64 v[79:80], v[61:62], v[46:47]
	v_fma_f64 v[48:49], v[48:49], v[44:45], -v[65:66]
	v_fma_f64 v[50:51], v[50:51], v[44:45], v[67:68]
	v_fma_f64 v[65:66], v[53:54], v[44:45], -v[69:70]
	v_fma_f64 v[81:82], v[55:56], v[44:45], v[71:72]
	;; [unrolled: 2-line block ×4, first 2 shown]
	ds_load_b128 v[53:56], v244
	ds_load_b128 v[60:63], v244 offset:1408
	ds_load_b128 v[68:71], v244 offset:2816
	;; [unrolled: 1-line block ×3, first 2 shown]
	s_waitcnt lgkmcnt(0)
	s_barrier
	buffer_gl0_inv
	v_add_f64 v[48:49], v[53:54], -v[48:49]
	v_add_f64 v[50:51], v[55:56], -v[50:51]
	;; [unrolled: 1-line block ×8, first 2 shown]
	v_fma_f64 v[80:81], v[53:54], 2.0, -v[48:49]
	v_fma_f64 v[82:83], v[55:56], 2.0, -v[50:51]
	;; [unrolled: 1-line block ×8, first 2 shown]
	ds_store_b128 v30, v[80:83]
	ds_store_b128 v30, v[48:51] offset:128
	ds_store_b128 v29, v[60:63]
	ds_store_b128 v29, v[64:67] offset:128
	;; [unrolled: 2-line block ×4, first 2 shown]
	s_waitcnt lgkmcnt(0)
	s_barrier
	buffer_gl0_inv
                                        ; implicit-def: $vgpr68_vgpr69
                                        ; implicit-def: $vgpr72_vgpr73
	s_and_saveexec_b32 s0, vcc_lo
	s_cbranch_execz .LBB0_3
; %bb.2:
	v_or_b32_e32 v0, v6, v140
	s_delay_alu instid0(VALU_DEP_1)
	v_lshlrev_b32_e32 v0, 4, v0
	ds_load_b128 v[80:83], v0
	ds_load_b128 v[48:51], v0 offset:1024
	ds_load_b128 v[60:63], v0 offset:2048
	;; [unrolled: 1-line block ×10, first 2 shown]
.LBB0_3:
	s_or_b32 exec_lo, exec_lo, s0
	v_and_b32_e32 v16, 15, v140
	scratch_store_b32 off, v6, off offset:120 ; 4-byte Folded Spill
	s_mov_b32 s14, 0xf8bb580b
	s_mov_b32 s15, 0xbfe14ced
	;; [unrolled: 1-line block ×3, first 2 shown]
	v_mad_u64_u32 v[108:109], null, 0xa0, v16, s[10:11]
	s_mov_b32 s9, 0x3feaeb8c
	s_mov_b32 s12, 0x8eee2c13
	;; [unrolled: 1-line block ×6, first 2 shown]
	s_clause 0x1
	global_load_b128 v[36:39], v[108:109], off offset:224
	global_load_b128 v[52:55], v[108:109], off offset:240
	s_mov_b32 s19, 0xbfefac9e
	s_mov_b32 s16, 0x640f44db
	;; [unrolled: 1-line block ×19, first 2 shown]
	v_lshrrev_b32_e32 v17, 4, v140
	s_waitcnt vmcnt(1) lgkmcnt(9)
	v_mul_f64 v[56:57], v[50:51], v[38:39]
	s_delay_alu instid0(VALU_DEP_1) | instskip(SKIP_1) | instid1(VALU_DEP_1)
	v_fma_f64 v[143:144], v[48:49], v[36:37], -v[56:57]
	v_mul_f64 v[48:49], v[48:49], v[38:39]
	v_fma_f64 v[145:146], v[50:51], v[36:37], v[48:49]
	s_clause 0x1
	global_load_b128 v[48:51], v[108:109], off offset:368
	global_load_b128 v[56:59], v[108:109], off offset:352
	s_waitcnt vmcnt(1) lgkmcnt(0)
	v_mul_f64 v[100:101], v[72:73], v[50:51]
	s_delay_alu instid0(VALU_DEP_1) | instskip(SKIP_1) | instid1(VALU_DEP_2)
	v_fma_f64 v[100:101], v[74:75], v[48:49], v[100:101]
	v_mul_f64 v[74:75], v[74:75], v[50:51]
	v_add_f64 v[209:210], v[145:146], -v[100:101]
	s_delay_alu instid0(VALU_DEP_2) | instskip(SKIP_2) | instid1(VALU_DEP_4)
	v_fma_f64 v[102:103], v[72:73], v[48:49], -v[74:75]
	v_mul_f64 v[72:73], v[62:63], v[54:55]
	v_add_f64 v[231:232], v[145:146], v[100:101]
	v_mul_f64 v[195:196], v[209:210], s[14:15]
	s_delay_alu instid0(VALU_DEP_4) | instskip(NEXT) | instid1(VALU_DEP_4)
	v_add_f64 v[203:204], v[143:144], v[102:103]
	v_fma_f64 v[122:123], v[60:61], v[52:53], -v[72:73]
	v_mul_f64 v[60:61], v[60:61], v[54:55]
	v_add_f64 v[233:234], v[143:144], -v[102:103]
	v_mul_f64 v[235:236], v[209:210], s[12:13]
	v_mul_f64 v[239:240], v[209:210], s[18:19]
	s_delay_alu instid0(VALU_DEP_4)
	v_fma_f64 v[124:125], v[62:63], v[52:53], v[60:61]
	s_waitcnt vmcnt(0)
	v_mul_f64 v[60:61], v[68:69], v[58:59]
	v_mul_f64 v[229:230], v[233:234], s[14:15]
	;; [unrolled: 1-line block ×4, first 2 shown]
	s_delay_alu instid0(VALU_DEP_4) | instskip(SKIP_1) | instid1(VALU_DEP_2)
	v_fma_f64 v[104:105], v[70:71], v[56:57], v[60:61]
	v_mul_f64 v[60:61], v[70:71], v[58:59]
	v_add_f64 v[147:148], v[124:125], -v[104:105]
	s_delay_alu instid0(VALU_DEP_2)
	v_fma_f64 v[106:107], v[68:69], v[56:57], -v[60:61]
	s_clause 0x1
	global_load_b128 v[60:63], v[108:109], off offset:256
	global_load_b128 v[68:71], v[108:109], off offset:272
	v_add_f64 v[149:150], v[124:125], v[104:105]
	v_mul_f64 v[141:142], v[147:148], s[12:13]
	v_add_f64 v[157:158], v[122:123], -v[106:107]
	v_mul_f64 v[191:192], v[147:148], s[30:31]
	v_mul_f64 v[205:206], v[147:148], s[24:25]
	s_delay_alu instid0(VALU_DEP_3) | instskip(SKIP_2) | instid1(VALU_DEP_3)
	v_mul_f64 v[151:152], v[157:158], s[12:13]
	v_mul_f64 v[197:198], v[157:158], s[30:31]
	;; [unrolled: 1-line block ×3, first 2 shown]
	v_fma_f64 v[112:113], v[149:150], s[0:1], -v[151:152]
	s_delay_alu instid0(VALU_DEP_3) | instskip(NEXT) | instid1(VALU_DEP_3)
	v_fma_f64 v[116:117], v[149:150], s[20:21], -v[197:198]
	v_fma_f64 v[217:218], v[149:150], s[22:23], -v[215:216]
	s_waitcnt vmcnt(1)
	v_mul_f64 v[72:73], v[66:67], v[62:63]
	s_delay_alu instid0(VALU_DEP_1) | instskip(SKIP_1) | instid1(VALU_DEP_1)
	v_fma_f64 v[126:127], v[64:65], v[60:61], -v[72:73]
	v_mul_f64 v[64:65], v[64:65], v[62:63]
	v_fma_f64 v[128:129], v[66:67], v[60:61], v[64:65]
	s_clause 0x1
	global_load_b128 v[64:67], v[108:109], off offset:336
	global_load_b128 v[72:75], v[108:109], off offset:320
	s_waitcnt vmcnt(1)
	v_mul_f64 v[110:111], v[96:97], v[66:67]
	s_delay_alu instid0(VALU_DEP_1) | instskip(SKIP_1) | instid1(VALU_DEP_2)
	v_fma_f64 v[130:131], v[98:99], v[64:65], v[110:111]
	v_mul_f64 v[98:99], v[98:99], v[66:67]
	v_add_f64 v[167:168], v[128:129], -v[130:131]
	s_delay_alu instid0(VALU_DEP_2) | instskip(SKIP_2) | instid1(VALU_DEP_4)
	v_fma_f64 v[96:97], v[96:97], v[64:65], -v[98:99]
	v_mul_f64 v[98:99], v[78:79], v[70:71]
	v_add_f64 v[159:160], v[128:129], v[130:131]
	v_mul_f64 v[155:156], v[167:168], s[18:19]
	s_delay_alu instid0(VALU_DEP_4) | instskip(NEXT) | instid1(VALU_DEP_4)
	v_add_f64 v[153:154], v[126:127], v[96:97]
	v_fma_f64 v[132:133], v[76:77], v[68:69], -v[98:99]
	v_mul_f64 v[76:77], v[76:77], v[70:71]
	v_add_f64 v[169:170], v[126:127], -v[96:97]
	v_mul_f64 v[193:194], v[167:168], s[24:25]
	s_delay_alu instid0(VALU_DEP_3) | instskip(SKIP_2) | instid1(VALU_DEP_4)
	v_fma_f64 v[136:137], v[78:79], v[68:69], v[76:77]
	s_waitcnt vmcnt(0)
	v_mul_f64 v[76:77], v[90:91], v[74:75]
	v_mul_f64 v[161:162], v[169:170], s[18:19]
	;; [unrolled: 1-line block ×4, first 2 shown]
	s_delay_alu instid0(VALU_DEP_4) | instskip(SKIP_1) | instid1(VALU_DEP_2)
	v_fma_f64 v[98:99], v[88:89], v[72:73], -v[76:77]
	v_mul_f64 v[76:77], v[88:89], v[74:75]
	v_add_f64 v[163:164], v[132:133], v[98:99]
	s_delay_alu instid0(VALU_DEP_2)
	v_fma_f64 v[134:135], v[90:91], v[72:73], v[76:77]
	s_clause 0x1
	global_load_b128 v[76:79], v[108:109], off offset:288
	global_load_b128 v[88:91], v[108:109], off offset:304
	v_add_f64 v[185:186], v[132:133], -v[98:99]
	s_waitcnt vmcnt(0)
	s_waitcnt_vscnt null, 0x0
	s_barrier
	buffer_gl0_inv
	v_add_f64 v[179:180], v[136:137], -v[134:135]
	v_add_f64 v[175:176], v[136:137], v[134:135]
	v_mul_f64 v[177:178], v[185:186], s[30:31]
	v_mul_f64 v[211:212], v[185:186], s[34:35]
	;; [unrolled: 1-line block ×7, first 2 shown]
	s_delay_alu instid0(VALU_DEP_1) | instskip(SKIP_1) | instid1(VALU_DEP_1)
	v_fma_f64 v[138:139], v[84:85], v[76:77], -v[108:109]
	v_mul_f64 v[84:85], v[84:85], v[78:79]
	v_fma_f64 v[86:87], v[86:87], v[76:77], v[84:85]
	v_mul_f64 v[84:85], v[94:95], v[90:91]
	s_delay_alu instid0(VALU_DEP_1) | instskip(SKIP_1) | instid1(VALU_DEP_2)
	v_fma_f64 v[84:85], v[92:93], v[88:89], -v[84:85]
	v_mul_f64 v[92:93], v[92:93], v[90:91]
	v_add_f64 v[171:172], v[138:139], v[84:85]
	s_delay_alu instid0(VALU_DEP_2) | instskip(SKIP_2) | instid1(VALU_DEP_3)
	v_fma_f64 v[92:93], v[94:95], v[88:89], v[92:93]
	v_fma_f64 v[94:95], v[203:204], s[8:9], v[195:196]
	v_add_f64 v[189:190], v[138:139], -v[84:85]
	v_add_f64 v[187:188], v[86:87], -v[92:93]
	s_delay_alu instid0(VALU_DEP_3)
	v_add_f64 v[108:109], v[80:81], v[94:95]
	v_add_f64 v[94:95], v[122:123], v[106:107]
	;; [unrolled: 1-line block ×3, first 2 shown]
	v_mul_f64 v[183:184], v[189:190], s[26:27]
	v_mul_f64 v[213:214], v[189:190], s[28:29]
	;; [unrolled: 1-line block ×4, first 2 shown]
	v_fma_f64 v[110:111], v[94:95], s[0:1], v[141:142]
	v_fma_f64 v[114:115], v[94:95], s[20:21], v[191:192]
	;; [unrolled: 1-line block ×3, first 2 shown]
	s_delay_alu instid0(VALU_DEP_3) | instskip(SKIP_1) | instid1(VALU_DEP_1)
	v_add_f64 v[108:109], v[110:111], v[108:109]
	v_fma_f64 v[110:111], v[231:232], s[8:9], -v[229:230]
	v_add_f64 v[110:111], v[82:83], v[110:111]
	s_delay_alu instid0(VALU_DEP_1) | instskip(SKIP_1) | instid1(VALU_DEP_1)
	v_add_f64 v[110:111], v[112:113], v[110:111]
	v_fma_f64 v[112:113], v[153:154], s[16:17], v[155:156]
	v_add_f64 v[108:109], v[112:113], v[108:109]
	v_fma_f64 v[112:113], v[159:160], s[16:17], -v[161:162]
	s_delay_alu instid0(VALU_DEP_1) | instskip(SKIP_1) | instid1(VALU_DEP_1)
	v_add_f64 v[110:111], v[112:113], v[110:111]
	v_fma_f64 v[112:113], v[163:164], s[20:21], v[165:166]
	v_add_f64 v[108:109], v[112:113], v[108:109]
	v_fma_f64 v[112:113], v[175:176], s[20:21], -v[177:178]
	;; [unrolled: 5-line block ×3, first 2 shown]
	s_delay_alu instid0(VALU_DEP_1) | instskip(SKIP_1) | instid1(VALU_DEP_1)
	v_add_f64 v[110:111], v[112:113], v[110:111]
	v_fma_f64 v[112:113], v[203:204], s[0:1], v[235:236]
	v_add_f64 v[112:113], v[80:81], v[112:113]
	s_delay_alu instid0(VALU_DEP_1) | instskip(SKIP_1) | instid1(VALU_DEP_1)
	v_add_f64 v[112:113], v[114:115], v[112:113]
	v_fma_f64 v[114:115], v[231:232], s[0:1], -v[237:238]
	v_add_f64 v[114:115], v[82:83], v[114:115]
	s_delay_alu instid0(VALU_DEP_1) | instskip(SKIP_1) | instid1(VALU_DEP_1)
	v_add_f64 v[114:115], v[116:117], v[114:115]
	v_fma_f64 v[116:117], v[153:154], s[22:23], v[193:194]
	v_add_f64 v[112:113], v[116:117], v[112:113]
	v_fma_f64 v[116:117], v[159:160], s[22:23], -v[207:208]
	s_delay_alu instid0(VALU_DEP_1) | instskip(SKIP_1) | instid1(VALU_DEP_1)
	v_add_f64 v[114:115], v[116:117], v[114:115]
	v_fma_f64 v[116:117], v[163:164], s[16:17], v[199:200]
	v_add_f64 v[112:113], v[116:117], v[112:113]
	v_fma_f64 v[116:117], v[175:176], s[16:17], -v[211:212]
	;; [unrolled: 5-line block ×3, first 2 shown]
	s_delay_alu instid0(VALU_DEP_1) | instskip(SKIP_1) | instid1(VALU_DEP_1)
	v_add_f64 v[114:115], v[116:117], v[114:115]
	v_fma_f64 v[116:117], v[203:204], s[16:17], v[239:240]
	v_add_f64 v[116:117], v[80:81], v[116:117]
	s_delay_alu instid0(VALU_DEP_1) | instskip(SKIP_1) | instid1(VALU_DEP_1)
	v_add_f64 v[116:117], v[118:119], v[116:117]
	v_fma_f64 v[118:119], v[231:232], s[16:17], -v[241:242]
	v_add_f64 v[118:119], v[82:83], v[118:119]
	s_delay_alu instid0(VALU_DEP_1) | instskip(SKIP_1) | instid1(VALU_DEP_1)
	v_add_f64 v[118:119], v[217:218], v[118:119]
	v_mul_f64 v[217:218], v[167:168], s[36:37]
	v_fma_f64 v[219:220], v[153:154], s[0:1], v[217:218]
	s_delay_alu instid0(VALU_DEP_1) | instskip(SKIP_1) | instid1(VALU_DEP_1)
	v_add_f64 v[116:117], v[219:220], v[116:117]
	v_fma_f64 v[219:220], v[159:160], s[0:1], -v[223:224]
	v_add_f64 v[118:119], v[219:220], v[118:119]
	v_fma_f64 v[219:220], v[163:164], s[8:9], v[221:222]
	s_delay_alu instid0(VALU_DEP_1) | instskip(SKIP_1) | instid1(VALU_DEP_1)
	v_add_f64 v[116:117], v[219:220], v[116:117]
	v_fma_f64 v[219:220], v[175:176], s[8:9], -v[225:226]
	v_add_f64 v[118:119], v[219:220], v[118:119]
	v_mul_f64 v[219:220], v[187:188], s[30:31]
	s_delay_alu instid0(VALU_DEP_1) | instskip(NEXT) | instid1(VALU_DEP_1)
	v_fma_f64 v[227:228], v[171:172], s[20:21], v[219:220]
	v_add_f64 v[116:117], v[227:228], v[116:117]
	v_mul_f64 v[227:228], v[189:190], s[30:31]
	s_delay_alu instid0(VALU_DEP_1) | instskip(NEXT) | instid1(VALU_DEP_1)
	v_fma_f64 v[253:254], v[181:182], s[20:21], -v[227:228]
	v_add_f64 v[118:119], v[253:254], v[118:119]
	s_and_saveexec_b32 s33, vcc_lo
	s_cbranch_execz .LBB0_5
; %bb.4:
	s_clause 0x1
	scratch_store_b32 off, v255, off offset:136
	scratch_store_b32 off, v246, off offset:132
	v_mov_b32_e32 v255, v16
	v_mov_b32_e32 v246, v140
	v_mov_b32_e32 v140, v17
	s_clause 0x1
	scratch_store_b32 off, v30, off offset:124
	scratch_store_b32 off, v28, off offset:128
	v_mov_b32_e32 v30, v26
	v_mov_b32_e32 v28, v24
	;; [unrolled: 1-line block ×4, first 2 shown]
	v_dual_mov_b32 v22, v243 :: v_dual_mov_b32 v243, v18
	v_dual_mov_b32 v20, v21 :: v_dual_mov_b32 v21, v19
	v_mov_b32_e32 v16, v249
	v_mul_f64 v[253:254], v[231:232], s[22:23]
	v_dual_mov_b32 v17, v250 :: v_dual_mov_b32 v18, v251
	v_mov_b32_e32 v19, v252
	v_mul_f64 v[249:250], v[231:232], s[20:21]
	s_mov_b32 s39, 0x3fe82f19
	s_mov_b32 s38, s30
	v_add_f64 v[4:5], v[80:81], v[143:144]
	v_mul_f64 v[8:9], v[175:176], s[0:1]
	v_mul_f64 v[12:13], v[181:182], s[16:17]
	v_fma_f64 v[251:252], v[233:234], s[24:25], v[253:254]
	v_fma_f64 v[253:254], v[233:234], s[26:27], v[253:254]
	;; [unrolled: 1-line block ×4, first 2 shown]
	v_mul_f64 v[233:234], v[231:232], s[16:17]
	v_fma_f64 v[10:11], v[185:186], s[12:13], v[8:9]
	v_fma_f64 v[14:15], v[189:190], s[34:35], v[12:13]
	;; [unrolled: 1-line block ×4, first 2 shown]
	v_add_f64 v[6:7], v[82:83], v[251:252]
	v_mul_f64 v[251:252], v[147:148], s[28:29]
	v_add_f64 v[0:1], v[82:83], v[0:1]
	v_add_f64 v[2:3], v[82:83], v[2:3]
	;; [unrolled: 1-line block ×3, first 2 shown]
	v_mul_f64 v[241:242], v[231:232], s[0:1]
	v_mul_f64 v[231:232], v[231:232], s[8:9]
	s_delay_alu instid0(VALU_DEP_3) | instskip(NEXT) | instid1(VALU_DEP_3)
	v_add_f64 v[233:234], v[82:83], v[233:234]
	v_add_f64 v[237:238], v[237:238], v[241:242]
	v_mul_f64 v[241:242], v[203:204], s[0:1]
	s_delay_alu instid0(VALU_DEP_4)
	v_add_f64 v[229:230], v[229:230], v[231:232]
	v_mul_f64 v[231:232], v[209:210], s[26:27]
	v_mul_f64 v[209:210], v[209:210], s[30:31]
	v_add_f64 v[237:238], v[82:83], v[237:238]
	v_add_f64 v[235:236], v[241:242], -v[235:236]
	v_mul_f64 v[241:242], v[203:204], s[16:17]
	v_add_f64 v[229:230], v[82:83], v[229:230]
	v_fma_f64 v[249:250], v[203:204], s[20:21], -v[209:210]
	v_fma_f64 v[209:210], v[203:204], s[20:21], v[209:210]
	v_add_f64 v[235:236], v[80:81], v[235:236]
	v_add_f64 v[239:240], v[241:242], -v[239:240]
	v_fma_f64 v[241:242], v[203:204], s[22:23], v[231:232]
	v_fma_f64 v[231:232], v[203:204], s[22:23], -v[231:232]
	v_mul_f64 v[203:204], v[203:204], s[8:9]
	v_add_f64 v[209:210], v[80:81], v[209:210]
	v_add_f64 v[239:240], v[80:81], v[239:240]
	;; [unrolled: 1-line block ×4, first 2 shown]
	v_add_f64 v[195:196], v[203:204], -v[195:196]
	v_add_f64 v[231:232], v[80:81], v[231:232]
	v_add_f64 v[203:204], v[82:83], v[145:146]
	;; [unrolled: 1-line block ×3, first 2 shown]
	v_mul_f64 v[253:254], v[167:168], s[30:31]
	v_add_f64 v[249:250], v[80:81], v[195:196]
	v_mul_f64 v[195:196], v[149:150], s[8:9]
	s_delay_alu instid0(VALU_DEP_1) | instskip(NEXT) | instid1(VALU_DEP_1)
	v_fma_f64 v[80:81], v[157:158], s[14:15], v[195:196]
	v_add_f64 v[6:7], v[80:81], v[6:7]
	v_fma_f64 v[80:81], v[94:95], s[8:9], v[251:252]
	s_delay_alu instid0(VALU_DEP_1) | instskip(SKIP_1) | instid1(VALU_DEP_1)
	v_add_f64 v[80:81], v[80:81], v[143:144]
	v_mul_f64 v[143:144], v[159:160], s[20:21]
	v_fma_f64 v[82:83], v[169:170], s[38:39], v[143:144]
	v_fma_f64 v[143:144], v[169:170], s[30:31], v[143:144]
	s_delay_alu instid0(VALU_DEP_2) | instskip(SKIP_1) | instid1(VALU_DEP_2)
	v_add_f64 v[6:7], v[82:83], v[6:7]
	v_fma_f64 v[82:83], v[153:154], s[20:21], v[253:254]
	v_add_f64 v[6:7], v[10:11], v[6:7]
	v_mul_f64 v[10:11], v[179:180], s[36:37]
	s_delay_alu instid0(VALU_DEP_3) | instskip(NEXT) | instid1(VALU_DEP_2)
	v_add_f64 v[80:81], v[82:83], v[80:81]
	v_fma_f64 v[82:83], v[163:164], s[0:1], v[10:11]
	v_fma_f64 v[10:11], v[163:164], s[0:1], -v[10:11]
	s_delay_alu instid0(VALU_DEP_2) | instskip(SKIP_2) | instid1(VALU_DEP_1)
	v_add_f64 v[80:81], v[82:83], v[80:81]
	v_add_f64 v[82:83], v[14:15], v[6:7]
	v_mul_f64 v[6:7], v[187:188], s[18:19]
	v_fma_f64 v[14:15], v[171:172], s[16:17], v[6:7]
	v_fma_f64 v[6:7], v[171:172], s[16:17], -v[6:7]
	s_delay_alu instid0(VALU_DEP_2) | instskip(SKIP_2) | instid1(VALU_DEP_2)
	v_add_f64 v[80:81], v[14:15], v[80:81]
	v_fma_f64 v[14:15], v[157:158], s[28:29], v[195:196]
	v_mul_f64 v[195:196], v[163:164], s[8:9]
	v_add_f64 v[14:15], v[14:15], v[145:146]
	v_fma_f64 v[145:146], v[94:95], s[8:9], -v[251:252]
	s_delay_alu instid0(VALU_DEP_3) | instskip(NEXT) | instid1(VALU_DEP_3)
	v_add_f64 v[195:196], v[195:196], -v[221:222]
	v_add_f64 v[14:15], v[143:144], v[14:15]
	s_delay_alu instid0(VALU_DEP_3) | instskip(SKIP_1) | instid1(VALU_DEP_3)
	v_add_f64 v[145:146], v[145:146], v[231:232]
	v_fma_f64 v[143:144], v[153:154], s[20:21], -v[253:254]
	v_add_f64 v[8:9], v[8:9], v[14:15]
	v_mul_f64 v[14:15], v[175:176], s[16:17]
	s_delay_alu instid0(VALU_DEP_3) | instskip(NEXT) | instid1(VALU_DEP_3)
	v_add_f64 v[143:144], v[143:144], v[145:146]
	v_add_f64 v[145:146], v[12:13], v[8:9]
	v_mul_f64 v[8:9], v[94:95], s[20:21]
	s_delay_alu instid0(VALU_DEP_3) | instskip(SKIP_2) | instid1(VALU_DEP_4)
	v_add_f64 v[10:11], v[10:11], v[143:144]
	v_mul_f64 v[12:13], v[153:154], s[22:23]
	v_add_f64 v[14:15], v[211:212], v[14:15]
	v_add_f64 v[8:9], v[8:9], -v[191:192]
	s_delay_alu instid0(VALU_DEP_4)
	v_add_f64 v[143:144], v[6:7], v[10:11]
	v_mul_f64 v[6:7], v[149:150], s[20:21]
	v_mul_f64 v[10:11], v[159:160], s[22:23]
	v_add_f64 v[12:13], v[12:13], -v[193:194]
	v_mul_f64 v[191:192], v[163:164], s[16:17]
	v_mul_f64 v[193:194], v[181:182], s[8:9]
	v_add_f64 v[8:9], v[8:9], v[235:236]
	v_add_f64 v[6:7], v[197:198], v[6:7]
	;; [unrolled: 1-line block ×3, first 2 shown]
	v_mul_f64 v[197:198], v[181:182], s[20:21]
	v_add_f64 v[191:192], v[191:192], -v[199:200]
	v_add_f64 v[193:194], v[213:214], v[193:194]
	v_add_f64 v[8:9], v[12:13], v[8:9]
	v_mul_f64 v[12:13], v[153:154], s[0:1]
	v_add_f64 v[6:7], v[6:7], v[237:238]
	v_add_f64 v[197:198], v[227:228], v[197:198]
	s_delay_alu instid0(VALU_DEP_4) | instskip(NEXT) | instid1(VALU_DEP_4)
	v_add_f64 v[8:9], v[191:192], v[8:9]
	v_add_f64 v[12:13], v[12:13], -v[217:218]
	s_delay_alu instid0(VALU_DEP_4) | instskip(SKIP_1) | instid1(VALU_DEP_2)
	v_add_f64 v[6:7], v[10:11], v[6:7]
	v_mul_f64 v[10:11], v[171:172], s[8:9]
	v_add_f64 v[6:7], v[14:15], v[6:7]
	s_delay_alu instid0(VALU_DEP_2) | instskip(SKIP_1) | instid1(VALU_DEP_3)
	v_add_f64 v[10:11], v[10:11], -v[201:202]
	v_mul_f64 v[14:15], v[175:176], s[8:9]
	v_add_f64 v[193:194], v[193:194], v[6:7]
	v_mul_f64 v[6:7], v[149:150], s[22:23]
	s_delay_alu instid0(VALU_DEP_4) | instskip(SKIP_4) | instid1(VALU_DEP_4)
	v_add_f64 v[191:192], v[10:11], v[8:9]
	v_mul_f64 v[8:9], v[94:95], s[22:23]
	v_mul_f64 v[10:11], v[159:160], s[0:1]
	v_add_f64 v[14:15], v[225:226], v[14:15]
	v_add_f64 v[6:7], v[215:216], v[6:7]
	v_add_f64 v[8:9], v[8:9], -v[205:206]
	s_delay_alu instid0(VALU_DEP_4) | instskip(NEXT) | instid1(VALU_DEP_3)
	v_add_f64 v[10:11], v[223:224], v[10:11]
	v_add_f64 v[6:7], v[6:7], v[233:234]
	s_delay_alu instid0(VALU_DEP_3) | instskip(NEXT) | instid1(VALU_DEP_2)
	v_add_f64 v[8:9], v[8:9], v[239:240]
	v_add_f64 v[6:7], v[10:11], v[6:7]
	v_mul_f64 v[10:11], v[171:172], s[20:21]
	s_delay_alu instid0(VALU_DEP_3) | instskip(SKIP_1) | instid1(VALU_DEP_4)
	v_add_f64 v[8:9], v[12:13], v[8:9]
	v_mul_f64 v[12:13], v[159:160], s[8:9]
	v_add_f64 v[6:7], v[14:15], v[6:7]
	s_delay_alu instid0(VALU_DEP_4) | instskip(NEXT) | instid1(VALU_DEP_4)
	v_add_f64 v[10:11], v[10:11], -v[219:220]
	v_add_f64 v[8:9], v[195:196], v[8:9]
	s_delay_alu instid0(VALU_DEP_4) | instskip(NEXT) | instid1(VALU_DEP_4)
	v_fma_f64 v[14:15], v[169:170], s[14:15], v[12:13]
	v_add_f64 v[197:198], v[197:198], v[6:7]
	v_mul_f64 v[6:7], v[149:150], s[16:17]
	s_delay_alu instid0(VALU_DEP_4) | instskip(NEXT) | instid1(VALU_DEP_2)
	v_add_f64 v[195:196], v[10:11], v[8:9]
	v_fma_f64 v[8:9], v[157:158], s[34:35], v[6:7]
	s_delay_alu instid0(VALU_DEP_1) | instskip(SKIP_1) | instid1(VALU_DEP_2)
	v_add_f64 v[2:3], v[8:9], v[2:3]
	v_mul_f64 v[8:9], v[147:148], s[34:35]
	v_add_f64 v[2:3], v[14:15], v[2:3]
	s_delay_alu instid0(VALU_DEP_2) | instskip(SKIP_1) | instid1(VALU_DEP_2)
	v_fma_f64 v[10:11], v[94:95], s[16:17], -v[8:9]
	v_mul_f64 v[14:15], v[167:168], s[14:15]
	v_add_f64 v[10:11], v[10:11], v[241:242]
	s_delay_alu instid0(VALU_DEP_2) | instskip(NEXT) | instid1(VALU_DEP_1)
	v_fma_f64 v[147:148], v[153:154], s[8:9], -v[14:15]
	v_add_f64 v[10:11], v[147:148], v[10:11]
	v_mul_f64 v[147:148], v[175:176], s[22:23]
	s_delay_alu instid0(VALU_DEP_1) | instskip(NEXT) | instid1(VALU_DEP_1)
	v_fma_f64 v[167:168], v[185:186], s[26:27], v[147:148]
	v_add_f64 v[2:3], v[167:168], v[2:3]
	v_mul_f64 v[167:168], v[179:180], s[26:27]
	s_delay_alu instid0(VALU_DEP_1) | instskip(NEXT) | instid1(VALU_DEP_1)
	v_fma_f64 v[179:180], v[163:164], s[22:23], -v[167:168]
	v_add_f64 v[10:11], v[179:180], v[10:11]
	v_mul_f64 v[179:180], v[187:188], s[36:37]
	v_mul_f64 v[187:188], v[181:182], s[0:1]
	s_delay_alu instid0(VALU_DEP_1) | instskip(NEXT) | instid1(VALU_DEP_1)
	v_fma_f64 v[199:200], v[189:190], s[36:37], v[187:188]
	v_add_f64 v[201:202], v[199:200], v[2:3]
	s_delay_alu instid0(VALU_DEP_4) | instskip(NEXT) | instid1(VALU_DEP_1)
	v_fma_f64 v[2:3], v[171:172], s[0:1], -v[179:180]
	v_add_f64 v[199:200], v[2:3], v[10:11]
	v_fma_f64 v[2:3], v[157:158], s[18:19], v[6:7]
	v_fma_f64 v[6:7], v[169:170], s[28:29], v[12:13]
	v_fma_f64 v[10:11], v[185:186], s[24:25], v[147:148]
	v_fma_f64 v[12:13], v[189:190], s[12:13], v[187:188]
	s_delay_alu instid0(VALU_DEP_4) | instskip(SKIP_2) | instid1(VALU_DEP_3)
	v_add_f64 v[0:1], v[2:3], v[0:1]
	v_fma_f64 v[2:3], v[94:95], s[16:17], v[8:9]
	v_mul_f64 v[8:9], v[153:154], s[16:17]
	v_add_f64 v[0:1], v[6:7], v[0:1]
	s_delay_alu instid0(VALU_DEP_3) | instskip(SKIP_1) | instid1(VALU_DEP_4)
	v_add_f64 v[2:3], v[2:3], v[209:210]
	v_fma_f64 v[6:7], v[153:154], s[8:9], v[14:15]
	v_add_f64 v[8:9], v[8:9], -v[155:156]
	v_mul_f64 v[14:15], v[181:182], s[22:23]
	v_add_f64 v[0:1], v[10:11], v[0:1]
	v_mul_f64 v[10:11], v[175:176], s[20:21]
	v_add_f64 v[2:3], v[6:7], v[2:3]
	v_fma_f64 v[6:7], v[163:164], s[22:23], v[167:168]
	v_add_f64 v[14:15], v[183:184], v[14:15]
	v_add_f64 v[169:170], v[12:13], v[0:1]
	v_mul_f64 v[0:1], v[149:150], s[0:1]
	v_mul_f64 v[12:13], v[163:164], s[20:21]
	v_add_f64 v[2:3], v[6:7], v[2:3]
	v_fma_f64 v[6:7], v[171:172], s[0:1], v[179:180]
	v_add_f64 v[10:11], v[177:178], v[10:11]
	v_add_f64 v[0:1], v[151:152], v[0:1]
	v_add_f64 v[12:13], v[12:13], -v[165:166]
	s_delay_alu instid0(VALU_DEP_4) | instskip(SKIP_3) | instid1(VALU_DEP_3)
	v_add_f64 v[167:168], v[6:7], v[2:3]
	v_mul_f64 v[2:3], v[94:95], s[0:1]
	v_mul_f64 v[6:7], v[159:160], s[16:17]
	v_add_f64 v[0:1], v[0:1], v[229:230]
	v_add_f64 v[2:3], v[2:3], -v[141:142]
	s_delay_alu instid0(VALU_DEP_3) | instskip(NEXT) | instid1(VALU_DEP_2)
	v_add_f64 v[6:7], v[161:162], v[6:7]
	v_add_f64 v[2:3], v[2:3], v[249:250]
	s_delay_alu instid0(VALU_DEP_2)
	v_add_f64 v[0:1], v[6:7], v[0:1]
	v_mul_f64 v[6:7], v[171:172], s[22:23]
	v_dual_mov_b32 v252, v19 :: v_dual_mov_b32 v251, v18
	v_dual_mov_b32 v250, v17 :: v_dual_mov_b32 v249, v16
	v_mov_b32_e32 v17, v140
	v_dual_mov_b32 v19, v21 :: v_dual_mov_b32 v18, v243
	v_mov_b32_e32 v243, v22
	v_mov_b32_e32 v21, v20
	;; [unrolled: 1-line block ×6, first 2 shown]
	s_clause 0x1
	scratch_load_b32 v28, off, off offset:128
	scratch_load_b32 v30, off, off offset:124
	v_mov_b32_e32 v140, v246
	scratch_load_b32 v246, off, off offset:132 ; 4-byte Folded Reload
	v_mov_b32_e32 v16, v255
	scratch_load_b32 v255, off, off offset:136 ; 4-byte Folded Reload
	v_add_f64 v[2:3], v[8:9], v[2:3]
	v_add_f64 v[0:1], v[10:11], v[0:1]
	v_add_f64 v[6:7], v[6:7], -v[173:174]
	s_delay_alu instid0(VALU_DEP_3) | instskip(NEXT) | instid1(VALU_DEP_3)
	v_add_f64 v[2:3], v[12:13], v[2:3]
	v_add_f64 v[149:150], v[14:15], v[0:1]
	;; [unrolled: 1-line block ×3, first 2 shown]
	s_delay_alu instid0(VALU_DEP_3) | instskip(SKIP_1) | instid1(VALU_DEP_3)
	v_add_f64 v[147:148], v[6:7], v[2:3]
	v_add_f64 v[2:3], v[4:5], v[122:123]
	;; [unrolled: 1-line block ×3, first 2 shown]
	s_delay_alu instid0(VALU_DEP_2) | instskip(NEXT) | instid1(VALU_DEP_2)
	v_add_f64 v[2:3], v[2:3], v[126:127]
	v_add_f64 v[0:1], v[0:1], v[136:137]
	s_delay_alu instid0(VALU_DEP_2) | instskip(NEXT) | instid1(VALU_DEP_2)
	v_add_f64 v[2:3], v[2:3], v[132:133]
	v_add_f64 v[0:1], v[0:1], v[86:87]
	;; [unrolled: 3-line block ×7, first 2 shown]
	v_mul_u32_u24_e32 v0, 0xb0, v17
	s_delay_alu instid0(VALU_DEP_1) | instskip(NEXT) | instid1(VALU_DEP_1)
	v_or_b32_e32 v0, v0, v16
	v_lshl_add_u32 v0, v0, 4, v245
	v_add_f64 v[84:85], v[2:3], v[102:103]
	ds_store_b128 v0, v[191:194] offset:512
	ds_store_b128 v0, v[116:119] offset:2048
	;; [unrolled: 1-line block ×9, first 2 shown]
	ds_store_b128 v0, v[84:87]
	ds_store_b128 v0, v[108:111] offset:2560
.LBB0_5:
	s_or_b32 exec_lo, exec_lo, s33
	v_add_co_u32 v138, s0, s10, v243
	s_delay_alu instid0(VALU_DEP_1) | instskip(SKIP_2) | instid1(VALU_DEP_2)
	v_add_co_ci_u32_e64 v139, null, s11, 0, s0
	s_waitcnt vmcnt(0) lgkmcnt(0)
	s_waitcnt_vscnt null, 0x0
	v_add_co_u32 v0, s0, 0x1000, v138
	s_delay_alu instid0(VALU_DEP_1)
	v_add_co_ci_u32_e64 v1, s0, 0, v139, s0
	s_barrier
	buffer_gl0_inv
	s_clause 0x1
	global_load_b128 v[80:83], v243, s[10:11] offset:2784
	global_load_b128 v[84:87], v[0:1], off offset:96
	ds_load_b128 v[92:95], v244 offset:5632
	ds_load_b128 v[96:99], v244 offset:8448
	;; [unrolled: 1-line block ×4, first 2 shown]
	s_waitcnt vmcnt(1) lgkmcnt(3)
	v_mul_f64 v[2:3], v[94:95], v[82:83]
	v_mul_f64 v[4:5], v[92:93], v[82:83]
	s_waitcnt vmcnt(0) lgkmcnt(1)
	v_mul_f64 v[10:11], v[102:103], v[86:87]
	v_mul_f64 v[12:13], v[100:101], v[86:87]
	;; [unrolled: 1-line block ×4, first 2 shown]
	s_waitcnt lgkmcnt(0)
	v_mul_f64 v[14:15], v[106:107], v[86:87]
	v_mul_f64 v[122:123], v[104:105], v[86:87]
	v_fma_f64 v[2:3], v[92:93], v[80:81], -v[2:3]
	v_fma_f64 v[4:5], v[94:95], v[80:81], v[4:5]
	v_fma_f64 v[10:11], v[100:101], v[84:85], -v[10:11]
	v_fma_f64 v[12:13], v[102:103], v[84:85], v[12:13]
	;; [unrolled: 2-line block ×4, first 2 shown]
	ds_load_b128 v[92:95], v244
	ds_load_b128 v[96:99], v244 offset:2816
	ds_load_b128 v[100:103], v244 offset:1408
	;; [unrolled: 1-line block ×3, first 2 shown]
	s_waitcnt lgkmcnt(0)
	s_barrier
	buffer_gl0_inv
	v_add_f64 v[122:123], v[92:93], -v[2:3]
	v_add_f64 v[124:125], v[94:95], -v[4:5]
	;; [unrolled: 1-line block ×8, first 2 shown]
	v_add_co_u32 v2, s0, 0x2000, v138
	s_delay_alu instid0(VALU_DEP_1)
	v_add_co_ci_u32_e64 v3, s0, 0, v139, s0
	v_fma_f64 v[92:93], v[92:93], 2.0, -v[122:123]
	v_fma_f64 v[94:95], v[94:95], 2.0, -v[124:125]
	v_fma_f64 v[100:101], v[100:101], 2.0, -v[130:131]
	v_fma_f64 v[102:103], v[102:103], 2.0, -v[132:133]
	v_fma_f64 v[96:97], v[96:97], 2.0, -v[126:127]
	v_fma_f64 v[98:99], v[98:99], 2.0, -v[128:129]
	v_fma_f64 v[104:105], v[104:105], 2.0, -v[134:135]
	v_fma_f64 v[106:107], v[106:107], 2.0, -v[136:137]
	ds_store_b128 v244, v[122:125] offset:2816
	ds_store_b128 v244, v[130:133] offset:4224
	;; [unrolled: 1-line block ×4, first 2 shown]
	ds_store_b128 v244, v[92:95]
	ds_store_b128 v244, v[100:103] offset:1408
	ds_store_b128 v244, v[96:99] offset:5632
	;; [unrolled: 1-line block ×3, first 2 shown]
	s_waitcnt lgkmcnt(0)
	s_barrier
	buffer_gl0_inv
	s_clause 0x3
	global_load_b128 v[96:99], v[0:1], off offset:1504
	global_load_b128 v[92:95], v[0:1], off offset:2912
	;; [unrolled: 1-line block ×4, first 2 shown]
	ds_load_b128 v[122:125], v244 offset:5632
	ds_load_b128 v[126:129], v244 offset:7040
	;; [unrolled: 1-line block ×4, first 2 shown]
	s_waitcnt vmcnt(3) lgkmcnt(3)
	v_mul_f64 v[0:1], v[124:125], v[98:99]
	v_mul_f64 v[2:3], v[122:123], v[98:99]
	s_waitcnt vmcnt(2) lgkmcnt(2)
	v_mul_f64 v[4:5], v[128:129], v[94:95]
	v_mul_f64 v[6:7], v[126:127], v[94:95]
	;; [unrolled: 3-line block ×4, first 2 shown]
	v_fma_f64 v[0:1], v[122:123], v[96:97], -v[0:1]
	v_fma_f64 v[2:3], v[124:125], v[96:97], v[2:3]
	v_fma_f64 v[4:5], v[126:127], v[92:93], -v[4:5]
	v_fma_f64 v[6:7], v[128:129], v[92:93], v[6:7]
	;; [unrolled: 2-line block ×4, first 2 shown]
	ds_load_b128 v[122:125], v244
	ds_load_b128 v[126:129], v244 offset:1408
	ds_load_b128 v[130:133], v244 offset:2816
	;; [unrolled: 1-line block ×3, first 2 shown]
	s_waitcnt lgkmcnt(3)
	v_add_f64 v[142:143], v[122:123], -v[0:1]
	scratch_load_b32 v0, off, off offset:120 ; 4-byte Folded Reload
	v_add_f64 v[144:145], v[124:125], -v[2:3]
	s_waitcnt lgkmcnt(2)
	v_add_f64 v[146:147], v[126:127], -v[4:5]
	v_add_f64 v[148:149], v[128:129], -v[6:7]
	s_waitcnt lgkmcnt(1)
	v_add_f64 v[150:151], v[130:131], -v[8:9]
	;; [unrolled: 3-line block ×3, first 2 shown]
	v_add_f64 v[156:157], v[136:137], -v[14:15]
	v_fma_f64 v[122:123], v[122:123], 2.0, -v[142:143]
	v_fma_f64 v[124:125], v[124:125], 2.0, -v[144:145]
	v_fma_f64 v[126:127], v[126:127], 2.0, -v[146:147]
	v_fma_f64 v[128:129], v[128:129], 2.0, -v[148:149]
	v_fma_f64 v[130:131], v[130:131], 2.0, -v[150:151]
	v_fma_f64 v[132:133], v[132:133], 2.0, -v[152:153]
	v_fma_f64 v[134:135], v[134:135], 2.0, -v[154:155]
	v_fma_f64 v[136:137], v[136:137], 2.0, -v[156:157]
	s_waitcnt vmcnt(0)
	v_lshl_add_u32 v141, v0, 4, v243
	v_add_co_u32 v0, s0, 0x2c00, v247
	s_delay_alu instid0(VALU_DEP_1) | instskip(SKIP_1) | instid1(VALU_DEP_1)
	v_add_co_ci_u32_e64 v1, s0, 0, v248, s0
	v_add_co_u32 v2, s0, 0x4000, v247
	v_add_co_ci_u32_e64 v3, s0, 0, v248, s0
	v_add_co_u32 v4, s0, 0x3000, v247
	ds_store_b128 v244, v[142:145] offset:5632
	ds_store_b128 v244, v[146:149] offset:7040
	ds_store_b128 v244, v[122:125]
	ds_store_b128 v244, v[126:129] offset:1408
	ds_store_b128 v244, v[130:133] offset:2816
	;; [unrolled: 1-line block ×5, first 2 shown]
	s_waitcnt lgkmcnt(0)
	s_barrier
	buffer_gl0_inv
	global_load_b128 v[120:123], v[120:121], off offset:3072
	v_add_co_ci_u32_e64 v5, s0, 0, v248, s0
	s_clause 0x3
	global_load_b128 v[124:127], v[2:3], off offset:512
	global_load_b128 v[128:131], v[0:1], off offset:1408
	;; [unrolled: 1-line block ×4, first 2 shown]
	v_add_co_u32 v0, s0, 0x5000, v247
	s_delay_alu instid0(VALU_DEP_1)
	v_add_co_ci_u32_e64 v1, s0, 0, v248, s0
	s_clause 0x2
	global_load_b128 v[142:145], v[2:3], off offset:3328
	global_load_b128 v[146:149], v[4:5], off offset:3200
	;; [unrolled: 1-line block ×3, first 2 shown]
	ds_load_b128 v[154:157], v244
	ds_load_b128 v[158:161], v244 offset:5632
	ds_load_b128 v[162:165], v244 offset:1408
	;; [unrolled: 1-line block ×7, first 2 shown]
	s_waitcnt vmcnt(7) lgkmcnt(7)
	v_mul_f64 v[0:1], v[156:157], v[122:123]
	v_mul_f64 v[2:3], v[154:155], v[122:123]
	s_waitcnt vmcnt(6) lgkmcnt(6)
	v_mul_f64 v[4:5], v[160:161], v[126:127]
	v_mul_f64 v[6:7], v[158:159], v[126:127]
	;; [unrolled: 3-line block ×8, first 2 shown]
	v_fma_f64 v[152:153], v[154:155], v[120:121], -v[0:1]
	v_fma_f64 v[154:155], v[156:157], v[120:121], v[2:3]
	v_fma_f64 v[120:121], v[158:159], v[124:125], -v[4:5]
	v_fma_f64 v[122:123], v[160:161], v[124:125], v[6:7]
	v_fma_f64 v[124:125], v[162:163], v[128:129], -v[8:9]
	v_fma_f64 v[126:127], v[164:165], v[128:129], v[10:11]
	v_fma_f64 v[128:129], v[166:167], v[132:133], -v[12:13]
	v_fma_f64 v[130:131], v[168:169], v[132:133], v[14:15]
	v_fma_f64 v[132:133], v[170:171], v[136:137], -v[134:135]
	v_fma_f64 v[134:135], v[172:173], v[136:137], v[138:139]
	v_fma_f64 v[136:137], v[174:175], v[142:143], -v[186:187]
	v_fma_f64 v[138:139], v[176:177], v[142:143], v[144:145]
	v_fma_f64 v[142:143], v[178:179], v[146:147], -v[188:189]
	v_fma_f64 v[144:145], v[180:181], v[146:147], v[148:149]
	v_fma_f64 v[146:147], v[182:183], v[150:151], -v[190:191]
	v_fma_f64 v[148:149], v[184:185], v[150:151], v[192:193]
	ds_store_b128 v244, v[152:155]
	ds_store_b128 v244, v[124:127] offset:1408
	ds_store_b128 v244, v[120:123] offset:5632
	;; [unrolled: 1-line block ×7, first 2 shown]
	s_waitcnt lgkmcnt(0)
	s_barrier
	buffer_gl0_inv
	ds_load_b128 v[120:123], v244 offset:5632
	ds_load_b128 v[124:127], v244
	ds_load_b128 v[128:131], v244 offset:1408
	ds_load_b128 v[132:135], v244 offset:7040
	ds_load_b128 v[136:139], v244 offset:8448
	ds_load_b128 v[142:145], v244 offset:2816
	ds_load_b128 v[146:149], v244 offset:4224
	ds_load_b128 v[150:153], v244 offset:9856
	s_waitcnt lgkmcnt(0)
	s_barrier
	buffer_gl0_inv
	v_add_f64 v[120:121], v[124:125], -v[120:121]
	v_add_f64 v[122:123], v[126:127], -v[122:123]
	v_add_f64 v[132:133], v[128:129], -v[132:133]
	v_add_f64 v[134:135], v[130:131], -v[134:135]
	v_add_f64 v[136:137], v[142:143], -v[136:137]
	v_add_f64 v[138:139], v[144:145], -v[138:139]
	v_add_f64 v[150:151], v[146:147], -v[150:151]
	v_add_f64 v[152:153], v[148:149], -v[152:153]
	v_fma_f64 v[124:125], v[124:125], 2.0, -v[120:121]
	v_fma_f64 v[126:127], v[126:127], 2.0, -v[122:123]
	v_fma_f64 v[128:129], v[128:129], 2.0, -v[132:133]
	v_fma_f64 v[130:131], v[130:131], 2.0, -v[134:135]
	v_fma_f64 v[142:143], v[142:143], 2.0, -v[136:137]
	v_fma_f64 v[144:145], v[144:145], 2.0, -v[138:139]
	v_fma_f64 v[146:147], v[146:147], 2.0, -v[150:151]
	v_fma_f64 v[148:149], v[148:149], 2.0, -v[152:153]
	ds_store_b128 v22, v[124:127]
	ds_store_b128 v22, v[120:123] offset:16
	ds_store_b128 v21, v[128:131]
	ds_store_b128 v21, v[132:135] offset:16
	ds_store_b128 v20, v[142:145]
	ds_store_b128 v20, v[136:139] offset:16
	ds_store_b128 v18, v[146:149]
	ds_store_b128 v18, v[150:153] offset:16
	s_waitcnt lgkmcnt(0)
	s_barrier
	buffer_gl0_inv
	ds_load_b128 v[120:123], v244 offset:5632
	ds_load_b128 v[124:127], v244 offset:7040
	ds_load_b128 v[128:131], v244 offset:8448
	ds_load_b128 v[132:135], v244 offset:9856
	s_waitcnt lgkmcnt(3)
	v_mul_f64 v[0:1], v[34:35], v[122:123]
	v_mul_f64 v[2:3], v[34:35], v[120:121]
	s_waitcnt lgkmcnt(2)
	v_mul_f64 v[4:5], v[34:35], v[126:127]
	v_mul_f64 v[6:7], v[34:35], v[124:125]
	s_waitcnt lgkmcnt(1)
	v_mul_f64 v[8:9], v[34:35], v[130:131]
	v_mul_f64 v[10:11], v[34:35], v[128:129]
	s_waitcnt lgkmcnt(0)
	v_mul_f64 v[12:13], v[34:35], v[134:135]
	v_mul_f64 v[14:15], v[34:35], v[132:133]
	v_fma_f64 v[0:1], v[32:33], v[120:121], v[0:1]
	v_fma_f64 v[2:3], v[32:33], v[122:123], -v[2:3]
	v_fma_f64 v[4:5], v[32:33], v[124:125], v[4:5]
	v_fma_f64 v[6:7], v[32:33], v[126:127], -v[6:7]
	v_fma_f64 v[8:9], v[32:33], v[128:129], v[8:9]
	v_fma_f64 v[10:11], v[32:33], v[130:131], -v[10:11]
	v_fma_f64 v[12:13], v[32:33], v[132:133], v[12:13]
	v_fma_f64 v[14:15], v[32:33], v[134:135], -v[14:15]
	ds_load_b128 v[32:35], v244
	ds_load_b128 v[120:123], v244 offset:1408
	ds_load_b128 v[124:127], v244 offset:2816
	ds_load_b128 v[128:131], v244 offset:4224
	s_waitcnt lgkmcnt(0)
	s_barrier
	buffer_gl0_inv
	v_add_f64 v[132:133], v[32:33], -v[0:1]
	v_add_f64 v[134:135], v[34:35], -v[2:3]
	v_add_f64 v[136:137], v[120:121], -v[4:5]
	v_add_f64 v[138:139], v[122:123], -v[6:7]
	v_add_f64 v[142:143], v[124:125], -v[8:9]
	v_add_f64 v[144:145], v[126:127], -v[10:11]
	v_add_f64 v[146:147], v[128:129], -v[12:13]
	v_add_f64 v[148:149], v[130:131], -v[14:15]
	v_fma_f64 v[32:33], v[32:33], 2.0, -v[132:133]
	v_fma_f64 v[34:35], v[34:35], 2.0, -v[134:135]
	v_fma_f64 v[120:121], v[120:121], 2.0, -v[136:137]
	v_fma_f64 v[122:123], v[122:123], 2.0, -v[138:139]
	v_fma_f64 v[124:125], v[124:125], 2.0, -v[142:143]
	v_fma_f64 v[126:127], v[126:127], 2.0, -v[144:145]
	v_fma_f64 v[128:129], v[128:129], 2.0, -v[146:147]
	v_fma_f64 v[130:131], v[130:131], 2.0, -v[148:149]
	ds_store_b128 v28, v[32:35]
	ds_store_b128 v28, v[132:135] offset:32
	ds_store_b128 v26, v[120:123]
	ds_store_b128 v26, v[136:139] offset:32
	ds_store_b128 v24, v[124:127]
	ds_store_b128 v24, v[142:145] offset:32
	ds_store_b128 v19, v[128:131]
	ds_store_b128 v19, v[146:149] offset:32
	s_waitcnt lgkmcnt(0)
	s_barrier
	buffer_gl0_inv
	ds_load_b128 v[32:35], v244 offset:5632
	ds_load_b128 v[120:123], v244 offset:7040
	ds_load_b128 v[124:127], v244 offset:8448
	ds_load_b128 v[128:131], v244 offset:9856
	s_waitcnt lgkmcnt(3)
	v_mul_f64 v[0:1], v[42:43], v[34:35]
	v_mul_f64 v[2:3], v[42:43], v[32:33]
	s_waitcnt lgkmcnt(2)
	v_mul_f64 v[4:5], v[42:43], v[122:123]
	v_mul_f64 v[6:7], v[42:43], v[120:121]
	s_waitcnt lgkmcnt(1)
	v_mul_f64 v[8:9], v[42:43], v[126:127]
	v_mul_f64 v[10:11], v[42:43], v[124:125]
	s_waitcnt lgkmcnt(0)
	v_mul_f64 v[12:13], v[42:43], v[130:131]
	v_mul_f64 v[14:15], v[42:43], v[128:129]
	v_fma_f64 v[0:1], v[40:41], v[32:33], v[0:1]
	v_fma_f64 v[2:3], v[40:41], v[34:35], -v[2:3]
	v_fma_f64 v[4:5], v[40:41], v[120:121], v[4:5]
	v_fma_f64 v[6:7], v[40:41], v[122:123], -v[6:7]
	v_fma_f64 v[8:9], v[40:41], v[124:125], v[8:9]
	v_fma_f64 v[10:11], v[40:41], v[126:127], -v[10:11]
	v_fma_f64 v[12:13], v[40:41], v[128:129], v[12:13]
	v_fma_f64 v[14:15], v[40:41], v[130:131], -v[14:15]
	ds_load_b128 v[32:35], v244
	ds_load_b128 v[40:43], v244 offset:1408
	ds_load_b128 v[120:123], v244 offset:2816
	ds_load_b128 v[124:127], v244 offset:4224
	s_waitcnt lgkmcnt(0)
	s_barrier
	buffer_gl0_inv
	v_add_f64 v[128:129], v[32:33], -v[0:1]
	v_add_f64 v[130:131], v[34:35], -v[2:3]
	v_add_f64 v[132:133], v[40:41], -v[4:5]
	v_add_f64 v[134:135], v[42:43], -v[6:7]
	v_add_f64 v[136:137], v[120:121], -v[8:9]
	v_add_f64 v[138:139], v[122:123], -v[10:11]
	v_add_f64 v[142:143], v[124:125], -v[12:13]
	v_add_f64 v[144:145], v[126:127], -v[14:15]
	v_fma_f64 v[32:33], v[32:33], 2.0, -v[128:129]
	v_fma_f64 v[34:35], v[34:35], 2.0, -v[130:131]
	v_fma_f64 v[40:41], v[40:41], 2.0, -v[132:133]
	v_fma_f64 v[42:43], v[42:43], 2.0, -v[134:135]
	v_fma_f64 v[120:121], v[120:121], 2.0, -v[136:137]
	v_fma_f64 v[122:123], v[122:123], 2.0, -v[138:139]
	v_fma_f64 v[124:125], v[124:125], 2.0, -v[142:143]
	v_fma_f64 v[126:127], v[126:127], 2.0, -v[144:145]
	ds_store_b128 v255, v[32:35]
	ds_store_b128 v255, v[128:131] offset:64
	ds_store_b128 v246, v[40:43]
	ds_store_b128 v246, v[132:135] offset:64
	ds_store_b128 v31, v[120:123]
	ds_store_b128 v31, v[136:139] offset:64
	ds_store_b128 v27, v[124:127]
	ds_store_b128 v27, v[142:145] offset:64
	s_waitcnt lgkmcnt(0)
	s_barrier
	buffer_gl0_inv
	ds_load_b128 v[32:35], v244 offset:5632
	ds_load_b128 v[40:43], v244 offset:7040
	ds_load_b128 v[120:123], v244 offset:8448
	ds_load_b128 v[124:127], v244 offset:9856
	s_waitcnt lgkmcnt(3)
	v_mul_f64 v[0:1], v[46:47], v[34:35]
	v_mul_f64 v[2:3], v[46:47], v[32:33]
	s_waitcnt lgkmcnt(2)
	v_mul_f64 v[4:5], v[46:47], v[42:43]
	v_mul_f64 v[6:7], v[46:47], v[40:41]
	s_waitcnt lgkmcnt(1)
	v_mul_f64 v[8:9], v[46:47], v[122:123]
	v_mul_f64 v[10:11], v[46:47], v[120:121]
	s_waitcnt lgkmcnt(0)
	v_mul_f64 v[12:13], v[46:47], v[126:127]
	v_mul_f64 v[14:15], v[46:47], v[124:125]
	v_fma_f64 v[0:1], v[44:45], v[32:33], v[0:1]
	v_fma_f64 v[2:3], v[44:45], v[34:35], -v[2:3]
	v_fma_f64 v[4:5], v[44:45], v[40:41], v[4:5]
	v_fma_f64 v[6:7], v[44:45], v[42:43], -v[6:7]
	v_fma_f64 v[8:9], v[44:45], v[120:121], v[8:9]
	v_fma_f64 v[10:11], v[44:45], v[122:123], -v[10:11]
	v_fma_f64 v[12:13], v[44:45], v[124:125], v[12:13]
	v_fma_f64 v[14:15], v[44:45], v[126:127], -v[14:15]
	ds_load_b128 v[32:35], v244
	ds_load_b128 v[120:123], v244 offset:1408
	ds_load_b128 v[128:131], v244 offset:2816
	ds_load_b128 v[136:139], v244 offset:4224
	s_waitcnt lgkmcnt(0)
	s_barrier
	buffer_gl0_inv
	v_add_f64 v[40:41], v[32:33], -v[0:1]
	v_add_f64 v[42:43], v[34:35], -v[2:3]
	;; [unrolled: 1-line block ×8, first 2 shown]
	v_fma_f64 v[32:33], v[32:33], 2.0, -v[40:41]
	v_fma_f64 v[34:35], v[34:35], 2.0, -v[42:43]
	;; [unrolled: 1-line block ×8, first 2 shown]
	ds_store_b128 v30, v[32:35]
	ds_store_b128 v30, v[40:43] offset:128
	ds_store_b128 v29, v[120:123]
	ds_store_b128 v29, v[44:47] offset:128
	;; [unrolled: 2-line block ×4, first 2 shown]
	s_waitcnt lgkmcnt(0)
	s_barrier
	buffer_gl0_inv
	s_and_saveexec_b32 s0, vcc_lo
	s_cbranch_execz .LBB0_7
; %bb.6:
	ds_load_b128 v[32:35], v244
	ds_load_b128 v[40:43], v244 offset:1024
	ds_load_b128 v[120:123], v244 offset:2048
	;; [unrolled: 1-line block ×10, first 2 shown]
.LBB0_7:
	s_or_b32 exec_lo, exec_lo, s0
	v_add_nc_u32_e32 v146, 0xb00, v141
	v_add_nc_u32_e32 v145, 0x1080, v141
	s_waitcnt lgkmcnt(0)
	s_barrier
	buffer_gl0_inv
	s_and_saveexec_b32 s30, vcc_lo
	s_cbranch_execz .LBB0_9
; %bb.8:
	v_mul_f64 v[0:1], v[38:39], v[40:41]
	s_mov_b32 s25, 0x3fed1bb4
	s_mov_b32 s24, 0x8eee2c13
	;; [unrolled: 1-line block ×26, first 2 shown]
	s_delay_alu instid0(VALU_DEP_1) | instskip(SKIP_1) | instid1(VALU_DEP_1)
	v_fma_f64 v[141:142], v[36:37], v[42:43], -v[0:1]
	v_mul_f64 v[0:1], v[38:39], v[42:43]
	v_fma_f64 v[143:144], v[36:37], v[40:41], v[0:1]
	v_mul_f64 v[0:1], v[78:79], v[126:127]
	s_delay_alu instid0(VALU_DEP_1) | instskip(SKIP_1) | instid1(VALU_DEP_1)
	v_fma_f64 v[36:37], v[76:77], v[124:125], v[0:1]
	v_mul_f64 v[0:1], v[78:79], v[124:125]
	v_fma_f64 v[40:41], v[76:77], v[126:127], -v[0:1]
	v_mul_f64 v[0:1], v[90:91], v[138:139]
	s_delay_alu instid0(VALU_DEP_1) | instskip(SKIP_1) | instid1(VALU_DEP_2)
	v_fma_f64 v[38:39], v[88:89], v[136:137], v[0:1]
	v_mul_f64 v[0:1], v[90:91], v[136:137]
	v_add_f64 v[4:5], v[36:37], -v[38:39]
	s_delay_alu instid0(VALU_DEP_2) | instskip(SKIP_2) | instid1(VALU_DEP_3)
	v_fma_f64 v[42:43], v[88:89], v[138:139], -v[0:1]
	v_mul_f64 v[0:1], v[70:71], v[130:131]
	v_add_f64 v[183:184], v[36:37], v[38:39]
	v_add_f64 v[6:7], v[40:41], -v[42:43]
	s_delay_alu instid0(VALU_DEP_3) | instskip(SKIP_2) | instid1(VALU_DEP_2)
	v_fma_f64 v[76:77], v[68:69], v[128:129], v[0:1]
	v_mul_f64 v[0:1], v[70:71], v[128:129]
	v_add_f64 v[181:182], v[40:41], v[42:43]
	v_fma_f64 v[78:79], v[68:69], v[130:131], -v[0:1]
	v_mul_f64 v[0:1], v[74:75], v[134:135]
	s_delay_alu instid0(VALU_DEP_1) | instskip(SKIP_1) | instid1(VALU_DEP_2)
	v_fma_f64 v[68:69], v[72:73], v[132:133], v[0:1]
	v_mul_f64 v[0:1], v[74:75], v[132:133]
	v_add_f64 v[179:180], v[76:77], v[68:69]
	s_delay_alu instid0(VALU_DEP_2) | instskip(SKIP_1) | instid1(VALU_DEP_2)
	v_fma_f64 v[70:71], v[72:73], v[134:135], -v[0:1]
	v_mul_f64 v[0:1], v[62:63], v[46:47]
	v_add_f64 v[2:3], v[78:79], -v[70:71]
	s_delay_alu instid0(VALU_DEP_2) | instskip(SKIP_2) | instid1(VALU_DEP_4)
	v_fma_f64 v[72:73], v[60:61], v[44:45], v[0:1]
	v_mul_f64 v[0:1], v[62:63], v[44:45]
	v_add_f64 v[177:178], v[78:79], v[70:71]
	v_mul_f64 v[14:15], v[2:3], s[24:25]
	s_delay_alu instid0(VALU_DEP_3) | instskip(SKIP_1) | instid1(VALU_DEP_1)
	v_fma_f64 v[60:61], v[60:61], v[46:47], -v[0:1]
	v_mul_f64 v[0:1], v[66:67], v[118:119]
	v_fma_f64 v[44:45], v[64:65], v[116:117], v[0:1]
	v_mul_f64 v[0:1], v[66:67], v[116:117]
	s_delay_alu instid0(VALU_DEP_2) | instskip(NEXT) | instid1(VALU_DEP_2)
	v_add_f64 v[8:9], v[72:73], -v[44:45]
	v_fma_f64 v[46:47], v[64:65], v[118:119], -v[0:1]
	v_mul_f64 v[0:1], v[54:55], v[122:123]
	v_add_f64 v[175:176], v[72:73], v[44:45]
	s_delay_alu instid0(VALU_DEP_4) | instskip(NEXT) | instid1(VALU_DEP_4)
	v_mul_f64 v[66:67], v[8:9], s[24:25]
	v_add_f64 v[10:11], v[60:61], -v[46:47]
	s_delay_alu instid0(VALU_DEP_4) | instskip(SKIP_2) | instid1(VALU_DEP_4)
	v_fma_f64 v[62:63], v[52:53], v[120:121], v[0:1]
	v_mul_f64 v[0:1], v[54:55], v[120:121]
	v_add_f64 v[173:174], v[60:61], v[46:47]
	v_mul_f64 v[74:75], v[10:11], s[24:25]
	s_delay_alu instid0(VALU_DEP_3) | instskip(SKIP_1) | instid1(VALU_DEP_1)
	v_fma_f64 v[64:65], v[52:53], v[122:123], -v[0:1]
	v_mul_f64 v[0:1], v[58:59], v[114:115]
	v_fma_f64 v[52:53], v[56:57], v[112:113], v[0:1]
	v_mul_f64 v[0:1], v[58:59], v[112:113]
	v_mul_f64 v[58:59], v[6:7], s[24:25]
	s_delay_alu instid0(VALU_DEP_3) | instskip(NEXT) | instid1(VALU_DEP_3)
	v_add_f64 v[165:166], v[62:63], -v[52:53]
	v_fma_f64 v[56:57], v[56:57], v[114:115], -v[0:1]
	v_mul_f64 v[0:1], v[50:51], v[110:111]
	v_add_f64 v[171:172], v[62:63], v[52:53]
	s_delay_alu instid0(VALU_DEP_3) | instskip(NEXT) | instid1(VALU_DEP_3)
	v_add_f64 v[167:168], v[64:65], v[56:57]
	v_fma_f64 v[54:55], v[48:49], v[108:109], v[0:1]
	v_mul_f64 v[0:1], v[50:51], v[108:109]
	v_mul_f64 v[50:51], v[4:5], s[24:25]
	v_add_f64 v[169:170], v[64:65], -v[56:57]
	s_delay_alu instid0(VALU_DEP_4) | instskip(NEXT) | instid1(VALU_DEP_4)
	v_add_f64 v[88:89], v[143:144], -v[54:55]
	v_fma_f64 v[48:49], v[48:49], v[110:111], -v[0:1]
	v_add_f64 v[0:1], v[76:77], -v[68:69]
	v_add_f64 v[134:135], v[143:144], v[54:55]
	v_add_f64 v[143:144], v[32:33], v[143:144]
	v_mul_f64 v[90:91], v[88:89], s[22:23]
	v_mul_f64 v[108:109], v[88:89], s[18:19]
	;; [unrolled: 1-line block ×3, first 2 shown]
	s_mov_b32 s25, 0xbfed1bb4
	v_mul_f64 v[110:111], v[88:89], s[20:21]
	v_mul_f64 v[112:113], v[88:89], s[26:27]
	v_mul_f64 v[88:89], v[88:89], s[24:25]
	v_add_f64 v[114:115], v[141:142], v[48:49]
	s_delay_alu instid0(VALU_DEP_1)
	v_fma_f64 v[116:117], v[114:115], s[12:13], v[90:91]
	v_fma_f64 v[90:91], v[114:115], s[12:13], -v[90:91]
	v_fma_f64 v[118:119], v[114:115], s[10:11], v[108:109]
	v_fma_f64 v[108:109], v[114:115], s[10:11], -v[108:109]
	;; [unrolled: 2-line block ×4, first 2 shown]
	v_fma_f64 v[124:125], v[114:115], s[8:9], -v[88:89]
	v_fma_f64 v[88:89], v[114:115], s[8:9], v[88:89]
	v_add_f64 v[114:115], v[141:142], -v[48:49]
	v_add_f64 v[141:142], v[34:35], v[141:142]
	v_add_f64 v[116:117], v[34:35], v[116:117]
	v_add_f64 v[90:91], v[34:35], v[90:91]
	v_add_f64 v[118:119], v[34:35], v[118:119]
	v_add_f64 v[120:121], v[34:35], v[120:121]
	v_add_f64 v[153:154], v[34:35], v[110:111]
	v_mul_f64 v[110:111], v[8:9], s[18:19]
	v_add_f64 v[157:158], v[34:35], v[112:113]
	v_add_f64 v[155:156], v[34:35], v[122:123]
	;; [unrolled: 1-line block ×3, first 2 shown]
	v_mul_f64 v[126:127], v[114:115], s[22:23]
	v_mul_f64 v[128:129], v[114:115], s[18:19]
	;; [unrolled: 1-line block ×7, first 2 shown]
	v_fma_f64 v[112:113], v[173:174], s[10:11], v[110:111]
	v_fma_f64 v[136:137], v[134:135], s[12:13], -v[126:127]
	v_fma_f64 v[126:127], v[134:135], s[12:13], v[126:127]
	v_fma_f64 v[138:139], v[134:135], s[10:11], -v[128:129]
	;; [unrolled: 2-line block ×3, first 2 shown]
	v_fma_f64 v[130:131], v[134:135], s[0:1], v[130:131]
	v_fma_f64 v[149:150], v[134:135], s[14:15], v[132:133]
	v_fma_f64 v[132:133], v[134:135], s[14:15], -v[132:133]
	v_fma_f64 v[151:152], v[134:135], s[8:9], v[114:115]
	v_fma_f64 v[114:115], v[134:135], s[8:9], -v[114:115]
	v_add_f64 v[134:135], v[32:33], v[136:137]
	v_add_f64 v[126:127], v[32:33], v[126:127]
	;; [unrolled: 1-line block ×10, first 2 shown]
	v_fma_f64 v[32:33], v[167:168], s[14:15], v[88:89]
	v_add_f64 v[138:139], v[34:35], v[108:109]
	v_mul_f64 v[108:109], v[169:170], s[16:17]
	v_add_f64 v[132:133], v[34:35], v[124:125]
	v_fma_f64 v[88:89], v[167:168], s[14:15], -v[88:89]
	v_mul_f64 v[124:125], v[4:5], s[18:19]
	v_add_f64 v[32:33], v[32:33], v[116:117]
	v_mul_f64 v[116:117], v[4:5], s[20:21]
	v_fma_f64 v[34:35], v[171:172], s[14:15], -v[108:109]
	v_add_f64 v[88:89], v[88:89], v[90:91]
	v_fma_f64 v[90:91], v[171:172], s[14:15], v[108:109]
	v_fma_f64 v[108:109], v[173:174], s[10:11], -v[110:111]
	v_add_f64 v[32:33], v[112:113], v[32:33]
	v_mul_f64 v[112:113], v[10:11], s[18:19]
	v_add_f64 v[34:35], v[34:35], v[134:135]
	v_add_f64 v[90:91], v[90:91], v[126:127]
	;; [unrolled: 1-line block ×3, first 2 shown]
	s_delay_alu instid0(VALU_DEP_4) | instskip(SKIP_2) | instid1(VALU_DEP_3)
	v_fma_f64 v[114:115], v[175:176], s[10:11], -v[112:113]
	v_fma_f64 v[108:109], v[175:176], s[10:11], v[112:113]
	v_mul_f64 v[112:113], v[169:170], s[28:29]
	v_add_f64 v[34:35], v[114:115], v[34:35]
	v_fma_f64 v[114:115], v[177:178], s[8:9], v[12:13]
	v_fma_f64 v[12:13], v[177:178], s[8:9], -v[12:13]
	v_add_f64 v[90:91], v[108:109], v[90:91]
	v_fma_f64 v[108:109], v[183:184], s[0:1], v[122:123]
	s_delay_alu instid0(VALU_DEP_4) | instskip(SKIP_4) | instid1(VALU_DEP_4)
	v_add_f64 v[32:33], v[114:115], v[32:33]
	v_fma_f64 v[114:115], v[179:180], s[8:9], -v[14:15]
	v_add_f64 v[12:13], v[12:13], v[88:89]
	v_fma_f64 v[14:15], v[179:180], s[8:9], v[14:15]
	v_fma_f64 v[88:89], v[181:182], s[0:1], -v[116:117]
	v_add_f64 v[114:115], v[114:115], v[34:35]
	v_fma_f64 v[34:35], v[181:182], s[0:1], v[116:117]
	s_delay_alu instid0(VALU_DEP_4) | instskip(NEXT) | instid1(VALU_DEP_4)
	v_add_f64 v[14:15], v[14:15], v[90:91]
	v_add_f64 v[90:91], v[88:89], v[12:13]
	v_mul_f64 v[12:13], v[165:166], s[28:29]
	v_mul_f64 v[116:117], v[10:11], s[26:27]
	v_add_f64 v[34:35], v[34:35], v[32:33]
	v_fma_f64 v[32:33], v[183:184], s[0:1], -v[122:123]
	v_add_f64 v[88:89], v[108:109], v[14:15]
	v_fma_f64 v[14:15], v[167:168], s[0:1], v[12:13]
	v_fma_f64 v[108:109], v[171:172], s[0:1], -v[112:113]
	v_mul_f64 v[122:123], v[2:3], s[22:23]
	v_fma_f64 v[12:13], v[167:168], s[0:1], -v[12:13]
	v_add_f64 v[32:33], v[32:33], v[114:115]
	v_mul_f64 v[114:115], v[8:9], s[26:27]
	v_add_f64 v[14:15], v[14:15], v[118:119]
	v_add_f64 v[108:109], v[108:109], v[136:137]
	v_mul_f64 v[118:119], v[0:1], s[22:23]
	v_add_f64 v[12:13], v[12:13], v[138:139]
	v_mul_f64 v[136:137], v[0:1], s[18:19]
	v_mul_f64 v[138:139], v[2:3], s[18:19]
	v_fma_f64 v[110:111], v[173:174], s[14:15], v[114:115]
	s_delay_alu instid0(VALU_DEP_1) | instskip(SKIP_1) | instid1(VALU_DEP_1)
	v_add_f64 v[14:15], v[110:111], v[14:15]
	v_fma_f64 v[110:111], v[175:176], s[14:15], -v[116:117]
	v_add_f64 v[108:109], v[110:111], v[108:109]
	v_fma_f64 v[110:111], v[177:178], s[12:13], v[118:119]
	s_delay_alu instid0(VALU_DEP_1) | instskip(SKIP_1) | instid1(VALU_DEP_1)
	v_add_f64 v[14:15], v[110:111], v[14:15]
	v_fma_f64 v[110:111], v[179:180], s[12:13], -v[122:123]
	v_add_f64 v[108:109], v[110:111], v[108:109]
	v_fma_f64 v[110:111], v[181:182], s[8:9], v[50:51]
	v_fma_f64 v[50:51], v[181:182], s[8:9], -v[50:51]
	s_delay_alu instid0(VALU_DEP_2) | instskip(SKIP_2) | instid1(VALU_DEP_2)
	v_add_f64 v[110:111], v[110:111], v[14:15]
	v_fma_f64 v[14:15], v[183:184], s[8:9], -v[58:59]
	v_fma_f64 v[58:59], v[183:184], s[8:9], v[58:59]
	v_add_f64 v[108:109], v[14:15], v[108:109]
	v_fma_f64 v[14:15], v[171:172], s[0:1], v[112:113]
	v_fma_f64 v[112:113], v[173:174], s[14:15], -v[114:115]
	s_delay_alu instid0(VALU_DEP_2) | instskip(NEXT) | instid1(VALU_DEP_2)
	v_add_f64 v[14:15], v[14:15], v[128:129]
	v_add_f64 v[12:13], v[112:113], v[12:13]
	v_fma_f64 v[112:113], v[175:176], s[14:15], v[116:117]
	v_fma_f64 v[116:117], v[173:174], s[8:9], v[66:67]
	s_delay_alu instid0(VALU_DEP_2) | instskip(SKIP_1) | instid1(VALU_DEP_1)
	v_add_f64 v[14:15], v[112:113], v[14:15]
	v_fma_f64 v[112:113], v[177:178], s[12:13], -v[118:119]
	v_add_f64 v[12:13], v[112:113], v[12:13]
	v_fma_f64 v[112:113], v[179:180], s[12:13], v[122:123]
	v_mul_f64 v[122:123], v[2:3], s[26:27]
	v_mul_f64 v[2:3], v[2:3], s[28:29]
	s_delay_alu instid0(VALU_DEP_4) | instskip(NEXT) | instid1(VALU_DEP_4)
	v_add_f64 v[114:115], v[50:51], v[12:13]
	v_add_f64 v[14:15], v[112:113], v[14:15]
	v_mul_f64 v[12:13], v[165:166], s[34:35]
	v_mul_f64 v[50:51], v[169:170], s[34:35]
	s_delay_alu instid0(VALU_DEP_3) | instskip(NEXT) | instid1(VALU_DEP_3)
	v_add_f64 v[112:113], v[58:59], v[14:15]
	v_fma_f64 v[14:15], v[167:168], s[12:13], v[12:13]
	s_delay_alu instid0(VALU_DEP_3) | instskip(SKIP_2) | instid1(VALU_DEP_4)
	v_fma_f64 v[58:59], v[171:172], s[12:13], -v[50:51]
	v_fma_f64 v[12:13], v[167:168], s[12:13], -v[12:13]
	v_fma_f64 v[50:51], v[171:172], s[12:13], v[50:51]
	v_add_f64 v[14:15], v[14:15], v[120:121]
	s_delay_alu instid0(VALU_DEP_4)
	v_add_f64 v[58:59], v[58:59], v[147:148]
	v_mul_f64 v[120:121], v[0:1], s[26:27]
	v_add_f64 v[12:13], v[12:13], v[153:154]
	v_add_f64 v[50:51], v[50:51], v[130:131]
	v_mul_f64 v[147:148], v[4:5], s[22:23]
	v_mul_f64 v[0:1], v[0:1], s[28:29]
	;; [unrolled: 1-line block ×3, first 2 shown]
	v_add_f64 v[14:15], v[116:117], v[14:15]
	v_fma_f64 v[116:117], v[175:176], s[8:9], -v[74:75]
	s_delay_alu instid0(VALU_DEP_1) | instskip(SKIP_1) | instid1(VALU_DEP_1)
	v_add_f64 v[58:59], v[116:117], v[58:59]
	v_fma_f64 v[116:117], v[177:178], s[14:15], v[120:121]
	v_add_f64 v[14:15], v[116:117], v[14:15]
	v_fma_f64 v[116:117], v[179:180], s[14:15], -v[122:123]
	s_delay_alu instid0(VALU_DEP_1) | instskip(SKIP_1) | instid1(VALU_DEP_1)
	v_add_f64 v[58:59], v[116:117], v[58:59]
	v_fma_f64 v[116:117], v[181:182], s[10:11], v[124:125]
	v_add_f64 v[118:119], v[116:117], v[14:15]
	v_mul_f64 v[14:15], v[6:7], s[18:19]
	s_delay_alu instid0(VALU_DEP_1) | instskip(SKIP_1) | instid1(VALU_DEP_2)
	v_fma_f64 v[116:117], v[183:184], s[10:11], -v[14:15]
	v_fma_f64 v[14:15], v[183:184], s[10:11], v[14:15]
	v_add_f64 v[116:117], v[116:117], v[58:59]
	v_fma_f64 v[58:59], v[173:174], s[8:9], -v[66:67]
	v_mul_f64 v[66:67], v[8:9], s[20:21]
	v_mul_f64 v[8:9], v[8:9], s[34:35]
	s_delay_alu instid0(VALU_DEP_3) | instskip(SKIP_1) | instid1(VALU_DEP_4)
	v_add_f64 v[12:13], v[58:59], v[12:13]
	v_fma_f64 v[58:59], v[175:176], s[8:9], v[74:75]
	v_fma_f64 v[74:75], v[173:174], s[0:1], -v[66:67]
	s_delay_alu instid0(VALU_DEP_4) | instskip(SKIP_1) | instid1(VALU_DEP_4)
	v_fma_f64 v[134:135], v[173:174], s[12:13], -v[8:9]
	v_fma_f64 v[8:9], v[173:174], s[12:13], v[8:9]
	v_add_f64 v[50:51], v[58:59], v[50:51]
	v_fma_f64 v[58:59], v[177:178], s[14:15], -v[120:121]
	s_delay_alu instid0(VALU_DEP_1) | instskip(SKIP_1) | instid1(VALU_DEP_1)
	v_add_f64 v[12:13], v[58:59], v[12:13]
	v_fma_f64 v[58:59], v[179:180], s[14:15], v[122:123]
	v_add_f64 v[50:51], v[58:59], v[50:51]
	v_fma_f64 v[58:59], v[181:182], s[10:11], -v[124:125]
	s_delay_alu instid0(VALU_DEP_2) | instskip(NEXT) | instid1(VALU_DEP_2)
	v_add_f64 v[120:121], v[14:15], v[50:51]
	v_add_f64 v[122:123], v[58:59], v[12:13]
	v_mul_f64 v[12:13], v[165:166], s[24:25]
	v_mul_f64 v[50:51], v[169:170], s[24:25]
	s_delay_alu instid0(VALU_DEP_2) | instskip(NEXT) | instid1(VALU_DEP_2)
	v_fma_f64 v[14:15], v[167:168], s[8:9], -v[12:13]
	v_fma_f64 v[58:59], v[171:172], s[8:9], v[50:51]
	s_delay_alu instid0(VALU_DEP_2) | instskip(NEXT) | instid1(VALU_DEP_2)
	v_add_f64 v[14:15], v[14:15], v[157:158]
	v_add_f64 v[58:59], v[58:59], v[149:150]
	s_delay_alu instid0(VALU_DEP_2) | instskip(SKIP_2) | instid1(VALU_DEP_2)
	v_add_f64 v[14:15], v[74:75], v[14:15]
	v_mul_f64 v[74:75], v[10:11], s[20:21]
	v_mul_f64 v[10:11], v[10:11], s[34:35]
	v_fma_f64 v[124:125], v[175:176], s[0:1], v[74:75]
	s_delay_alu instid0(VALU_DEP_1) | instskip(SKIP_1) | instid1(VALU_DEP_1)
	v_add_f64 v[58:59], v[124:125], v[58:59]
	v_fma_f64 v[124:125], v[177:178], s[10:11], -v[136:137]
	v_add_f64 v[14:15], v[124:125], v[14:15]
	v_fma_f64 v[124:125], v[179:180], s[10:11], v[138:139]
	s_delay_alu instid0(VALU_DEP_1) | instskip(SKIP_1) | instid1(VALU_DEP_1)
	v_add_f64 v[58:59], v[124:125], v[58:59]
	v_fma_f64 v[124:125], v[181:182], s[12:13], -v[147:148]
	v_add_f64 v[126:127], v[124:125], v[14:15]
	v_mul_f64 v[14:15], v[6:7], s[22:23]
	v_mul_f64 v[6:7], v[6:7], s[16:17]
	s_delay_alu instid0(VALU_DEP_2) | instskip(NEXT) | instid1(VALU_DEP_1)
	v_fma_f64 v[124:125], v[183:184], s[12:13], v[14:15]
	v_add_f64 v[124:125], v[124:125], v[58:59]
	v_mul_f64 v[58:59], v[165:166], s[18:19]
	s_delay_alu instid0(VALU_DEP_1) | instskip(SKIP_1) | instid1(VALU_DEP_2)
	v_fma_f64 v[128:129], v[167:168], s[10:11], -v[58:59]
	v_fma_f64 v[58:59], v[167:168], s[10:11], v[58:59]
	v_add_f64 v[128:129], v[128:129], v[132:133]
	v_mul_f64 v[132:133], v[169:170], s[18:19]
	s_delay_alu instid0(VALU_DEP_3) | instskip(NEXT) | instid1(VALU_DEP_3)
	v_add_f64 v[58:59], v[58:59], v[161:162]
	v_add_f64 v[128:129], v[134:135], v[128:129]
	s_delay_alu instid0(VALU_DEP_3)
	v_fma_f64 v[130:131], v[171:172], s[10:11], v[132:133]
	v_fma_f64 v[134:135], v[175:176], s[12:13], v[10:11]
	v_fma_f64 v[132:133], v[171:172], s[10:11], -v[132:133]
	v_fma_f64 v[10:11], v[175:176], s[12:13], -v[10:11]
	v_add_f64 v[8:9], v[8:9], v[58:59]
	v_add_f64 v[130:131], v[130:131], v[151:152]
	s_delay_alu instid0(VALU_DEP_4) | instskip(NEXT) | instid1(VALU_DEP_2)
	v_add_f64 v[132:133], v[132:133], v[163:164]
	v_add_f64 v[130:131], v[134:135], v[130:131]
	v_fma_f64 v[134:135], v[177:178], s[0:1], -v[0:1]
	s_delay_alu instid0(VALU_DEP_3) | instskip(SKIP_1) | instid1(VALU_DEP_3)
	v_add_f64 v[10:11], v[10:11], v[132:133]
	v_fma_f64 v[0:1], v[177:178], s[0:1], v[0:1]
	v_add_f64 v[128:129], v[134:135], v[128:129]
	v_fma_f64 v[134:135], v[179:180], s[0:1], v[2:3]
	v_fma_f64 v[2:3], v[179:180], s[0:1], -v[2:3]
	s_delay_alu instid0(VALU_DEP_4) | instskip(SKIP_1) | instid1(VALU_DEP_4)
	v_add_f64 v[0:1], v[0:1], v[8:9]
	v_fma_f64 v[8:9], v[177:178], s[10:11], v[136:137]
	v_add_f64 v[134:135], v[134:135], v[130:131]
	v_fma_f64 v[130:131], v[181:182], s[14:15], -v[4:5]
	v_add_f64 v[2:3], v[2:3], v[10:11]
	v_fma_f64 v[4:5], v[181:182], s[14:15], v[4:5]
	v_fma_f64 v[10:11], v[179:180], s[10:11], -v[138:139]
	s_delay_alu instid0(VALU_DEP_4) | instskip(SKIP_2) | instid1(VALU_DEP_2)
	v_add_f64 v[130:131], v[130:131], v[128:129]
	v_fma_f64 v[128:129], v[183:184], s[14:15], v[6:7]
	v_fma_f64 v[6:7], v[183:184], s[14:15], -v[6:7]
	v_add_f64 v[128:129], v[128:129], v[134:135]
	v_add_f64 v[134:135], v[4:5], v[0:1]
	s_delay_alu instid0(VALU_DEP_3) | instskip(SKIP_4) | instid1(VALU_DEP_4)
	v_add_f64 v[132:133], v[6:7], v[2:3]
	v_add_f64 v[0:1], v[141:142], v[64:65]
	;; [unrolled: 1-line block ×3, first 2 shown]
	v_fma_f64 v[4:5], v[173:174], s[0:1], v[66:67]
	v_fma_f64 v[6:7], v[175:176], s[0:1], -v[74:75]
	v_add_f64 v[0:1], v[0:1], v[60:61]
	s_delay_alu instid0(VALU_DEP_4) | instskip(NEXT) | instid1(VALU_DEP_2)
	v_add_f64 v[2:3], v[2:3], v[72:73]
	v_add_f64 v[0:1], v[0:1], v[78:79]
	s_delay_alu instid0(VALU_DEP_2) | instskip(NEXT) | instid1(VALU_DEP_2)
	v_add_f64 v[2:3], v[2:3], v[76:77]
	v_add_f64 v[0:1], v[0:1], v[40:41]
	s_delay_alu instid0(VALU_DEP_2) | instskip(NEXT) | instid1(VALU_DEP_2)
	;; [unrolled: 3-line block ×6, first 2 shown]
	v_add_f64 v[2:3], v[2:3], v[52:53]
	v_add_f64 v[38:39], v[0:1], v[48:49]
	s_delay_alu instid0(VALU_DEP_2) | instskip(SKIP_2) | instid1(VALU_DEP_2)
	v_add_f64 v[36:37], v[2:3], v[54:55]
	v_fma_f64 v[0:1], v[167:168], s[8:9], v[12:13]
	v_fma_f64 v[2:3], v[171:172], s[8:9], -v[50:51]
	v_add_f64 v[0:1], v[0:1], v[155:156]
	s_delay_alu instid0(VALU_DEP_2) | instskip(NEXT) | instid1(VALU_DEP_2)
	v_add_f64 v[2:3], v[2:3], v[159:160]
	v_add_f64 v[0:1], v[4:5], v[0:1]
	s_delay_alu instid0(VALU_DEP_2) | instskip(SKIP_2) | instid1(VALU_DEP_4)
	v_add_f64 v[2:3], v[6:7], v[2:3]
	v_fma_f64 v[4:5], v[181:182], s[12:13], v[147:148]
	v_fma_f64 v[6:7], v[183:184], s[12:13], -v[14:15]
	v_add_f64 v[0:1], v[8:9], v[0:1]
	s_delay_alu instid0(VALU_DEP_4) | instskip(NEXT) | instid1(VALU_DEP_2)
	v_add_f64 v[2:3], v[10:11], v[2:3]
	v_add_f64 v[42:43], v[4:5], v[0:1]
	s_delay_alu instid0(VALU_DEP_2) | instskip(SKIP_1) | instid1(VALU_DEP_1)
	v_add_f64 v[40:41], v[6:7], v[2:3]
	v_mul_u32_u24_e32 v0, 0xb0, v17
	v_or_b32_e32 v0, v0, v16
	s_delay_alu instid0(VALU_DEP_1)
	v_lshl_add_u32 v0, v0, 4, v245
	ds_store_b128 v0, v[112:115] offset:1024
	ds_store_b128 v0, v[88:91] offset:1280
	;; [unrolled: 1-line block ×9, first 2 shown]
	ds_store_b128 v0, v[36:39]
	ds_store_b128 v0, v[40:43] offset:2560
.LBB0_9:
	s_or_b32 exec_lo, exec_lo, s30
	s_waitcnt lgkmcnt(0)
	s_barrier
	buffer_gl0_inv
	ds_load_b128 v[32:35], v244 offset:5632
	ds_load_b128 v[36:39], v244 offset:7040
	;; [unrolled: 1-line block ×4, first 2 shown]
	v_mad_u64_u32 v[74:75], null, s4, v140, 0
	s_mov_b32 s0, 0x745d1746
	s_mov_b32 s1, 0x3f5745d1
	s_mul_i32 s8, s4, 0x1600
	s_mul_hi_u32 s9, s4, 0xffffef80
	s_mul_i32 s10, s4, 0xffffef80
	s_waitcnt lgkmcnt(3)
	v_mul_f64 v[0:1], v[82:83], v[34:35]
	v_mul_f64 v[2:3], v[82:83], v[32:33]
	s_waitcnt lgkmcnt(2)
	v_mul_f64 v[4:5], v[86:87], v[38:39]
	v_mul_f64 v[6:7], v[86:87], v[36:37]
	;; [unrolled: 3-line block ×4, first 2 shown]
	v_fma_f64 v[0:1], v[80:81], v[32:33], v[0:1]
	v_fma_f64 v[2:3], v[80:81], v[34:35], -v[2:3]
	v_fma_f64 v[4:5], v[84:85], v[36:37], v[4:5]
	v_fma_f64 v[6:7], v[84:85], v[38:39], -v[6:7]
	;; [unrolled: 2-line block ×4, first 2 shown]
	ds_load_b128 v[32:35], v244
	ds_load_b128 v[36:39], v244 offset:1408
	ds_load_b128 v[40:43], v244 offset:2816
	;; [unrolled: 1-line block ×3, first 2 shown]
	s_waitcnt lgkmcnt(0)
	s_barrier
	buffer_gl0_inv
	v_add_f64 v[48:49], v[32:33], -v[0:1]
	v_add_f64 v[50:51], v[34:35], -v[2:3]
	;; [unrolled: 1-line block ×8, first 2 shown]
	v_fma_f64 v[32:33], v[32:33], 2.0, -v[48:49]
	v_fma_f64 v[34:35], v[34:35], 2.0, -v[50:51]
	;; [unrolled: 1-line block ×8, first 2 shown]
	ds_store_b128 v244, v[48:51] offset:2816
	ds_store_b128 v244, v[52:55] offset:4224
	;; [unrolled: 1-line block ×4, first 2 shown]
	ds_store_b128 v244, v[32:35]
	ds_store_b128 v244, v[36:39] offset:1408
	ds_store_b128 v244, v[40:43] offset:5632
	;; [unrolled: 1-line block ×3, first 2 shown]
	s_waitcnt lgkmcnt(0)
	s_barrier
	buffer_gl0_inv
	ds_load_b128 v[32:35], v244 offset:5632
	ds_load_b128 v[36:39], v244 offset:7040
	;; [unrolled: 1-line block ×4, first 2 shown]
	s_waitcnt lgkmcnt(3)
	v_mul_f64 v[0:1], v[98:99], v[34:35]
	v_mul_f64 v[2:3], v[98:99], v[32:33]
	s_waitcnt lgkmcnt(2)
	v_mul_f64 v[4:5], v[94:95], v[38:39]
	v_mul_f64 v[6:7], v[94:95], v[36:37]
	;; [unrolled: 3-line block ×4, first 2 shown]
	v_fma_f64 v[0:1], v[96:97], v[32:33], v[0:1]
	v_fma_f64 v[2:3], v[96:97], v[34:35], -v[2:3]
	v_fma_f64 v[4:5], v[92:93], v[36:37], v[4:5]
	v_fma_f64 v[6:7], v[92:93], v[38:39], -v[6:7]
	;; [unrolled: 2-line block ×4, first 2 shown]
	ds_load_b128 v[32:35], v244
	ds_load_b128 v[36:39], v244 offset:1408
	ds_load_b128 v[40:43], v244 offset:2816
	;; [unrolled: 1-line block ×3, first 2 shown]
	s_waitcnt lgkmcnt(3)
	v_add_f64 v[48:49], v[32:33], -v[0:1]
	v_add_f64 v[50:51], v[34:35], -v[2:3]
	s_waitcnt lgkmcnt(2)
	v_add_f64 v[52:53], v[36:37], -v[4:5]
	v_add_f64 v[54:55], v[38:39], -v[6:7]
	;; [unrolled: 3-line block ×4, first 2 shown]
	v_fma_f64 v[32:33], v[32:33], 2.0, -v[48:49]
	v_fma_f64 v[34:35], v[34:35], 2.0, -v[50:51]
	;; [unrolled: 1-line block ×8, first 2 shown]
	ds_store_b128 v244, v[48:51] offset:5632
	ds_store_b128 v244, v[52:55] offset:7040
	;; [unrolled: 1-line block ×4, first 2 shown]
	ds_store_b128 v244, v[32:35]
	ds_store_b128 v244, v[36:39] offset:1408
	ds_store_b128 v244, v[40:43] offset:2816
	;; [unrolled: 1-line block ×3, first 2 shown]
	s_waitcnt lgkmcnt(0)
	s_barrier
	buffer_gl0_inv
	ds_load_b128 v[32:35], v244
	ds_load_b128 v[36:39], v244 offset:5632
	ds_load_b128 v[40:43], v244 offset:1408
	;; [unrolled: 1-line block ×7, first 2 shown]
	s_clause 0x6
	scratch_load_b128 v[83:86], off, off offset:32
	scratch_load_b64 v[72:73], off, off offset:64
	scratch_load_b128 v[16:19], off, off
	scratch_load_b128 v[79:82], off, off offset:16
	scratch_load_b128 v[24:27], off, off offset:88
	;; [unrolled: 1-line block ×4, first 2 shown]
	s_waitcnt lgkmcnt(7)
	v_mul_f64 v[0:1], v[251:252], v[34:35]
	v_mul_f64 v[2:3], v[251:252], v[32:33]
	s_delay_alu instid0(VALU_DEP_2) | instskip(NEXT) | instid1(VALU_DEP_2)
	v_fma_f64 v[0:1], v[249:250], v[32:33], v[0:1]
	v_fma_f64 v[2:3], v[249:250], v[34:35], -v[2:3]
	s_delay_alu instid0(VALU_DEP_2) | instskip(NEXT) | instid1(VALU_DEP_2)
	v_mul_f64 v[0:1], v[0:1], s[0:1]
	v_mul_f64 v[2:3], v[2:3], s[0:1]
	s_waitcnt vmcnt(6) lgkmcnt(6)
	v_mul_f64 v[4:5], v[85:86], v[38:39]
	v_mul_f64 v[6:7], v[85:86], v[36:37]
	scratch_load_b128 v[85:88], off, off offset:48 ; 16-byte Folded Reload
	s_waitcnt vmcnt(5) lgkmcnt(5)
	v_mul_f64 v[8:9], v[18:19], v[42:43]
	v_mul_f64 v[10:11], v[18:19], v[40:41]
	s_waitcnt vmcnt(4) lgkmcnt(3)
	v_mul_f64 v[18:19], v[81:82], v[50:51]
	v_mul_f64 v[64:65], v[81:82], v[48:49]
	;; [unrolled: 3-line block ×4, first 2 shown]
	v_mov_b32_e32 v78, v72
	s_waitcnt vmcnt(1)
	v_mul_f64 v[66:67], v[22:23], v[54:55]
	v_mul_f64 v[22:23], v[22:23], v[52:53]
	s_delay_alu instid0(VALU_DEP_3) | instskip(SKIP_1) | instid1(VALU_DEP_1)
	v_mad_u64_u32 v[72:73], null, s6, v78, 0
	s_mul_i32 s6, s5, 0x1600
	v_mad_u64_u32 v[76:77], null, s7, v78, v[73:74]
	v_mov_b32_e32 v73, v75
	s_mul_hi_u32 s7, s4, 0x1600
	s_delay_alu instid0(SALU_CYCLE_1) | instskip(NEXT) | instid1(VALU_DEP_1)
	s_add_i32 s7, s7, s6
	v_mad_u64_u32 v[77:78], null, s5, v140, v[73:74]
	s_delay_alu instid0(VALU_DEP_3) | instskip(SKIP_3) | instid1(VALU_DEP_4)
	v_mov_b32_e32 v73, v76
	s_mulk_i32 s5, 0xef80
	v_fma_f64 v[4:5], v[83:84], v[36:37], v[4:5]
	v_fma_f64 v[6:7], v[83:84], v[38:39], -v[6:7]
	v_mov_b32_e32 v75, v77
	v_fma_f64 v[8:9], v[16:17], v[40:41], v[8:9]
	v_fma_f64 v[10:11], v[16:17], v[42:43], -v[10:11]
	v_fma_f64 v[16:17], v[79:80], v[48:49], v[18:19]
	v_fma_f64 v[18:19], v[79:80], v[50:51], -v[64:65]
	;; [unrolled: 2-line block ×4, first 2 shown]
	v_lshlrev_b64 v[24:25], 4, v[74:75]
	v_fma_f64 v[32:33], v[20:21], v[52:53], v[66:67]
	v_fma_f64 v[22:23], v[20:21], v[54:55], -v[22:23]
	v_lshlrev_b64 v[20:21], 4, v[72:73]
	s_delay_alu instid0(VALU_DEP_1) | instskip(SKIP_1) | instid1(VALU_DEP_2)
	v_add_co_u32 v20, vcc_lo, s2, v20
	s_sub_i32 s2, s9, s4
	v_add_co_ci_u32_e32 v21, vcc_lo, s3, v21, vcc_lo
	s_add_i32 s2, s2, s5
	s_delay_alu instid0(VALU_DEP_2) | instskip(NEXT) | instid1(VALU_DEP_2)
	v_add_co_u32 v38, vcc_lo, v20, v24
	v_add_co_ci_u32_e32 v39, vcc_lo, v21, v25, vcc_lo
	s_delay_alu instid0(VALU_DEP_2) | instskip(NEXT) | instid1(VALU_DEP_2)
	v_add_co_u32 v40, vcc_lo, v38, s8
	v_add_co_ci_u32_e32 v41, vcc_lo, s7, v39, vcc_lo
	v_mul_f64 v[4:5], v[4:5], s[0:1]
	v_mul_f64 v[6:7], v[6:7], s[0:1]
	;; [unrolled: 1-line block ×12, first 2 shown]
	v_add_co_u32 v32, vcc_lo, v40, s10
	v_add_co_ci_u32_e32 v33, vcc_lo, s2, v41, vcc_lo
	s_delay_alu instid0(VALU_DEP_2) | instskip(NEXT) | instid1(VALU_DEP_2)
	v_add_co_u32 v34, vcc_lo, v32, s8
	v_add_co_ci_u32_e32 v35, vcc_lo, s7, v33, vcc_lo
	s_delay_alu instid0(VALU_DEP_2) | instskip(NEXT) | instid1(VALU_DEP_2)
	;; [unrolled: 3-line block ×3, first 2 shown]
	v_add_co_u32 v42, vcc_lo, v36, s8
	v_add_co_ci_u32_e32 v43, vcc_lo, s7, v37, vcc_lo
	s_waitcnt vmcnt(0)
	v_mul_f64 v[12:13], v[87:88], v[46:47]
	v_mul_f64 v[14:15], v[87:88], v[44:45]
	s_delay_alu instid0(VALU_DEP_2) | instskip(NEXT) | instid1(VALU_DEP_2)
	v_fma_f64 v[12:13], v[85:86], v[44:45], v[12:13]
	v_fma_f64 v[14:15], v[85:86], v[46:47], -v[14:15]
	v_add_co_u32 v44, vcc_lo, v42, s10
	v_add_co_ci_u32_e32 v45, vcc_lo, s2, v43, vcc_lo
	s_delay_alu instid0(VALU_DEP_2) | instskip(NEXT) | instid1(VALU_DEP_2)
	v_add_co_u32 v46, vcc_lo, v44, s8
	v_add_co_ci_u32_e32 v47, vcc_lo, s7, v45, vcc_lo
	v_mul_f64 v[12:13], v[12:13], s[0:1]
	v_mul_f64 v[14:15], v[14:15], s[0:1]
	s_clause 0x4
	global_store_b128 v[38:39], v[0:3], off
	global_store_b128 v[40:41], v[4:7], off
	;; [unrolled: 1-line block ×8, first 2 shown]
.LBB0_10:
	s_nop 0
	s_sendmsg sendmsg(MSG_DEALLOC_VGPRS)
	s_endpgm
	.section	.rodata,"a",@progbits
	.p2align	6, 0x0
	.amdhsa_kernel bluestein_single_back_len704_dim1_dp_op_CI_CI
		.amdhsa_group_segment_fixed_size 22528
		.amdhsa_private_segment_fixed_size 144
		.amdhsa_kernarg_size 104
		.amdhsa_user_sgpr_count 15
		.amdhsa_user_sgpr_dispatch_ptr 0
		.amdhsa_user_sgpr_queue_ptr 0
		.amdhsa_user_sgpr_kernarg_segment_ptr 1
		.amdhsa_user_sgpr_dispatch_id 0
		.amdhsa_user_sgpr_private_segment_size 0
		.amdhsa_wavefront_size32 1
		.amdhsa_uses_dynamic_stack 0
		.amdhsa_enable_private_segment 1
		.amdhsa_system_sgpr_workgroup_id_x 1
		.amdhsa_system_sgpr_workgroup_id_y 0
		.amdhsa_system_sgpr_workgroup_id_z 0
		.amdhsa_system_sgpr_workgroup_info 0
		.amdhsa_system_vgpr_workitem_id 0
		.amdhsa_next_free_vgpr 256
		.amdhsa_next_free_sgpr 40
		.amdhsa_reserve_vcc 1
		.amdhsa_float_round_mode_32 0
		.amdhsa_float_round_mode_16_64 0
		.amdhsa_float_denorm_mode_32 3
		.amdhsa_float_denorm_mode_16_64 3
		.amdhsa_dx10_clamp 1
		.amdhsa_ieee_mode 1
		.amdhsa_fp16_overflow 0
		.amdhsa_workgroup_processor_mode 1
		.amdhsa_memory_ordered 1
		.amdhsa_forward_progress 0
		.amdhsa_shared_vgpr_count 0
		.amdhsa_exception_fp_ieee_invalid_op 0
		.amdhsa_exception_fp_denorm_src 0
		.amdhsa_exception_fp_ieee_div_zero 0
		.amdhsa_exception_fp_ieee_overflow 0
		.amdhsa_exception_fp_ieee_underflow 0
		.amdhsa_exception_fp_ieee_inexact 0
		.amdhsa_exception_int_div_zero 0
	.end_amdhsa_kernel
	.text
.Lfunc_end0:
	.size	bluestein_single_back_len704_dim1_dp_op_CI_CI, .Lfunc_end0-bluestein_single_back_len704_dim1_dp_op_CI_CI
                                        ; -- End function
	.section	.AMDGPU.csdata,"",@progbits
; Kernel info:
; codeLenInByte = 15436
; NumSgprs: 42
; NumVgprs: 256
; ScratchSize: 144
; MemoryBound: 0
; FloatMode: 240
; IeeeMode: 1
; LDSByteSize: 22528 bytes/workgroup (compile time only)
; SGPRBlocks: 5
; VGPRBlocks: 31
; NumSGPRsForWavesPerEU: 42
; NumVGPRsForWavesPerEU: 256
; Occupancy: 5
; WaveLimiterHint : 1
; COMPUTE_PGM_RSRC2:SCRATCH_EN: 1
; COMPUTE_PGM_RSRC2:USER_SGPR: 15
; COMPUTE_PGM_RSRC2:TRAP_HANDLER: 0
; COMPUTE_PGM_RSRC2:TGID_X_EN: 1
; COMPUTE_PGM_RSRC2:TGID_Y_EN: 0
; COMPUTE_PGM_RSRC2:TGID_Z_EN: 0
; COMPUTE_PGM_RSRC2:TIDIG_COMP_CNT: 0
	.text
	.p2alignl 7, 3214868480
	.fill 96, 4, 3214868480
	.type	__hip_cuid_645b8f2fdc6eb1b0,@object ; @__hip_cuid_645b8f2fdc6eb1b0
	.section	.bss,"aw",@nobits
	.globl	__hip_cuid_645b8f2fdc6eb1b0
__hip_cuid_645b8f2fdc6eb1b0:
	.byte	0                               ; 0x0
	.size	__hip_cuid_645b8f2fdc6eb1b0, 1

	.ident	"AMD clang version 19.0.0git (https://github.com/RadeonOpenCompute/llvm-project roc-6.4.0 25133 c7fe45cf4b819c5991fe208aaa96edf142730f1d)"
	.section	".note.GNU-stack","",@progbits
	.addrsig
	.addrsig_sym __hip_cuid_645b8f2fdc6eb1b0
	.amdgpu_metadata
---
amdhsa.kernels:
  - .args:
      - .actual_access:  read_only
        .address_space:  global
        .offset:         0
        .size:           8
        .value_kind:     global_buffer
      - .actual_access:  read_only
        .address_space:  global
        .offset:         8
        .size:           8
        .value_kind:     global_buffer
      - .actual_access:  read_only
        .address_space:  global
        .offset:         16
        .size:           8
        .value_kind:     global_buffer
      - .actual_access:  read_only
        .address_space:  global
        .offset:         24
        .size:           8
        .value_kind:     global_buffer
      - .actual_access:  read_only
        .address_space:  global
        .offset:         32
        .size:           8
        .value_kind:     global_buffer
      - .offset:         40
        .size:           8
        .value_kind:     by_value
      - .address_space:  global
        .offset:         48
        .size:           8
        .value_kind:     global_buffer
      - .address_space:  global
        .offset:         56
        .size:           8
        .value_kind:     global_buffer
      - .address_space:  global
        .offset:         64
        .size:           8
        .value_kind:     global_buffer
      - .address_space:  global
        .offset:         72
        .size:           8
        .value_kind:     global_buffer
      - .offset:         80
        .size:           4
        .value_kind:     by_value
      - .address_space:  global
        .offset:         88
        .size:           8
        .value_kind:     global_buffer
      - .address_space:  global
        .offset:         96
        .size:           8
        .value_kind:     global_buffer
    .group_segment_fixed_size: 22528
    .kernarg_segment_align: 8
    .kernarg_segment_size: 104
    .language:       OpenCL C
    .language_version:
      - 2
      - 0
    .max_flat_workgroup_size: 176
    .name:           bluestein_single_back_len704_dim1_dp_op_CI_CI
    .private_segment_fixed_size: 144
    .sgpr_count:     42
    .sgpr_spill_count: 0
    .symbol:         bluestein_single_back_len704_dim1_dp_op_CI_CI.kd
    .uniform_work_group_size: 1
    .uses_dynamic_stack: false
    .vgpr_count:     256
    .vgpr_spill_count: 35
    .wavefront_size: 32
    .workgroup_processor_mode: 1
amdhsa.target:   amdgcn-amd-amdhsa--gfx1100
amdhsa.version:
  - 1
  - 2
...

	.end_amdgpu_metadata
